;; amdgpu-corpus repo=ROCm/rocFFT kind=compiled arch=gfx1201 opt=O3
	.text
	.amdgcn_target "amdgcn-amd-amdhsa--gfx1201"
	.amdhsa_code_object_version 6
	.protected	bluestein_single_back_len270_dim1_half_op_CI_CI ; -- Begin function bluestein_single_back_len270_dim1_half_op_CI_CI
	.globl	bluestein_single_back_len270_dim1_half_op_CI_CI
	.p2align	8
	.type	bluestein_single_back_len270_dim1_half_op_CI_CI,@function
bluestein_single_back_len270_dim1_half_op_CI_CI: ; @bluestein_single_back_len270_dim1_half_op_CI_CI
; %bb.0:
	s_load_b128 s[16:19], s[0:1], 0x28
	v_mul_u32_u24_e32 v1, 0x97c, v0
	v_mov_b32_e32 v2, 0
	s_mov_b32 s2, exec_lo
	s_delay_alu instid0(VALU_DEP_2) | instskip(NEXT) | instid1(VALU_DEP_1)
	v_lshrrev_b32_e32 v3, 16, v1
	v_lshl_add_u32 v1, ttmp9, 2, v3
	s_wait_kmcnt 0x0
	s_delay_alu instid0(VALU_DEP_1)
	v_cmpx_gt_u64_e64 s[16:17], v[1:2]
	s_cbranch_execz .LBB0_26
; %bb.1:
	s_clause 0x1
	s_load_b128 s[4:7], s[0:1], 0x18
	s_load_b128 s[8:11], s[0:1], 0x0
	v_mul_lo_u16 v2, v3, 27
	v_and_b32_e32 v3, 3, v3
	s_delay_alu instid0(VALU_DEP_2) | instskip(NEXT) | instid1(VALU_DEP_2)
	v_sub_nc_u16 v2, v0, v2
	v_mul_u32_u24_e32 v3, 0x10e, v3
	s_delay_alu instid0(VALU_DEP_2) | instskip(NEXT) | instid1(VALU_DEP_2)
	v_and_b32_e32 v56, 0xffff, v2
	v_lshlrev_b32_e32 v63, 2, v3
	s_wait_kmcnt 0x0
	s_load_b128 s[12:15], s[4:5], 0x0
	s_wait_kmcnt 0x0
	v_mad_co_u64_u32 v[4:5], null, s14, v1, 0
	v_mad_co_u64_u32 v[6:7], null, s12, v56, 0
	s_mul_u64 s[2:3], s[12:13], 0x6c
	s_delay_alu instid0(VALU_DEP_1) | instskip(SKIP_1) | instid1(VALU_DEP_2)
	v_dual_mov_b32 v0, v5 :: v_dual_mov_b32 v5, v7
	v_lshlrev_b32_e32 v65, 2, v56
	v_mad_co_u64_u32 v[7:8], null, s15, v1, v[0:1]
	s_delay_alu instid0(VALU_DEP_3)
	v_mad_co_u64_u32 v[8:9], null, s13, v56, v[5:6]
	s_clause 0x9
	global_load_b32 v58, v65, s[8:9]
	global_load_b32 v59, v65, s[8:9] offset:108
	global_load_b32 v0, v65, s[8:9] offset:216
	;; [unrolled: 1-line block ×9, first 2 shown]
	v_add_nc_u32_e32 v49, v63, v65
	v_mov_b32_e32 v5, v7
	v_mov_b32_e32 v7, v8
	s_delay_alu instid0(VALU_DEP_2) | instskip(NEXT) | instid1(VALU_DEP_2)
	v_lshlrev_b64_e32 v[4:5], 2, v[4:5]
	v_lshlrev_b64_e32 v[6:7], 2, v[6:7]
	s_delay_alu instid0(VALU_DEP_2) | instskip(NEXT) | instid1(VALU_DEP_3)
	v_add_co_u32 v4, vcc_lo, s18, v4
	v_add_co_ci_u32_e32 v5, vcc_lo, s19, v5, vcc_lo
	s_delay_alu instid0(VALU_DEP_2) | instskip(SKIP_1) | instid1(VALU_DEP_2)
	v_add_co_u32 v4, vcc_lo, v4, v6
	s_wait_alu 0xfffd
	v_add_co_ci_u32_e32 v5, vcc_lo, v5, v7, vcc_lo
	s_delay_alu instid0(VALU_DEP_2) | instskip(SKIP_1) | instid1(VALU_DEP_2)
	v_add_co_u32 v6, vcc_lo, v4, s2
	s_wait_alu 0xfffd
	v_add_co_ci_u32_e32 v7, vcc_lo, s3, v5, vcc_lo
	s_clause 0x1
	global_load_b32 v8, v[4:5], off
	global_load_b32 v9, v[6:7], off
	v_add_co_u32 v4, vcc_lo, v6, s2
	s_wait_alu 0xfffd
	v_add_co_ci_u32_e32 v5, vcc_lo, s3, v7, vcc_lo
	s_delay_alu instid0(VALU_DEP_2) | instskip(SKIP_1) | instid1(VALU_DEP_2)
	v_add_co_u32 v6, vcc_lo, v4, s2
	s_wait_alu 0xfffd
	v_add_co_ci_u32_e32 v7, vcc_lo, s3, v5, vcc_lo
	s_clause 0x1
	global_load_b32 v10, v[4:5], off
	global_load_b32 v11, v[6:7], off
	v_add_co_u32 v4, vcc_lo, v6, s2
	s_wait_alu 0xfffd
	v_add_co_ci_u32_e32 v5, vcc_lo, s3, v7, vcc_lo
	s_delay_alu instid0(VALU_DEP_2) | instskip(SKIP_1) | instid1(VALU_DEP_2)
	v_add_co_u32 v6, vcc_lo, v4, s2
	s_wait_alu 0xfffd
	v_add_co_ci_u32_e32 v7, vcc_lo, s3, v5, vcc_lo
	global_load_b32 v12, v[4:5], off
	v_add_co_u32 v4, vcc_lo, v6, s2
	s_wait_alu 0xfffd
	v_add_co_ci_u32_e32 v5, vcc_lo, s3, v7, vcc_lo
	global_load_b32 v13, v[6:7], off
	;; [unrolled: 4-line block ×5, first 2 shown]
	global_load_b32 v5, v[6:7], off
	s_load_b128 s[4:7], s[6:7], 0x0
	s_load_b64 s[2:3], s[0:1], 0x38
	v_cmp_gt_u16_e32 vcc_lo, 9, v2
	s_wait_loadcnt 0x13
	v_lshrrev_b32_e32 v62, 16, v58
	s_wait_loadcnt 0x12
	v_lshrrev_b32_e32 v61, 16, v59
	;; [unrolled: 2-line block ×11, first 2 shown]
	v_mul_f16_e32 v6, v62, v8
	s_wait_loadcnt 0x8
	v_lshrrev_b32_e32 v16, 16, v9
	v_mul_f16_e32 v17, v61, v9
	v_mul_f16_e32 v7, v62, v3
	v_fma_f16 v3, v58, v3, -v6
	s_delay_alu instid0(VALU_DEP_4) | instskip(NEXT) | instid1(VALU_DEP_4)
	v_mul_f16_e32 v6, v61, v16
	v_fma_f16 v16, v59, v16, -v17
	s_delay_alu instid0(VALU_DEP_4) | instskip(NEXT) | instid1(VALU_DEP_3)
	v_fmac_f16_e32 v7, v58, v8
	v_fmac_f16_e32 v6, v59, v9
	s_wait_loadcnt 0x7
	v_lshrrev_b32_e32 v8, 16, v10
	v_mul_f16_e32 v17, v60, v10
	v_pack_b32_f16 v3, v7, v3
	s_wait_loadcnt 0x6
	v_lshrrev_b32_e32 v9, 16, v11
	v_pack_b32_f16 v6, v6, v16
	v_mul_f16_e32 v7, v60, v8
	v_fma_f16 v8, v0, v8, -v17
	v_mul_f16_e32 v17, v57, v11
	s_delay_alu instid0(VALU_DEP_3)
	v_fmac_f16_e32 v7, v0, v10
	v_mul_f16_e32 v10, v57, v9
	s_wait_loadcnt 0x5
	v_lshrrev_b32_e32 v16, 16, v12
	v_mul_f16_e32 v18, v55, v12
	v_fma_f16 v9, v54, v9, -v17
	v_pack_b32_f16 v7, v7, v8
	v_fmac_f16_e32 v10, v54, v11
	v_mul_f16_e32 v8, v55, v16
	v_fma_f16 v11, v52, v16, -v18
	s_wait_loadcnt 0x4
	v_lshrrev_b32_e32 v16, 16, v13
	v_mul_f16_e32 v17, v53, v13
	v_pack_b32_f16 v9, v10, v9
	v_fmac_f16_e32 v8, v52, v12
	s_wait_loadcnt 0x3
	v_lshrrev_b32_e32 v10, 16, v14
	v_mul_f16_e32 v12, v53, v16
	v_fma_f16 v16, v50, v16, -v17
	v_mul_f16_e32 v17, v51, v14
	v_pack_b32_f16 v8, v8, v11
	v_mul_f16_e32 v11, v51, v10
	v_fmac_f16_e32 v12, v50, v13
	s_wait_loadcnt 0x2
	v_lshrrev_b32_e32 v13, 16, v15
	v_fma_f16 v10, v47, v10, -v17
	v_mul_f16_e32 v17, v48, v15
	v_fmac_f16_e32 v11, v47, v14
	s_wait_loadcnt 0x1
	v_lshrrev_b32_e32 v14, 16, v4
	s_wait_loadcnt 0x0
	v_lshrrev_b32_e32 v19, 16, v5
	v_mul_f16_e32 v18, v48, v13
	v_fma_f16 v13, v46, v13, -v17
	v_mul_f16_e32 v17, v45, v4
	v_mul_f16_e32 v20, v45, v14
	;; [unrolled: 1-line block ×4, first 2 shown]
	v_fmac_f16_e32 v18, v46, v15
	v_fma_f16 v14, v44, v14, -v17
	v_fmac_f16_e32 v20, v44, v4
	v_fma_f16 v4, v42, v19, -v21
	v_fmac_f16_e32 v22, v42, v5
	v_pack_b32_f16 v5, v12, v16
	v_pack_b32_f16 v10, v11, v10
	;; [unrolled: 1-line block ×5, first 2 shown]
	ds_store_2addr_b32 v49, v3, v6 offset1:27
	ds_store_2addr_b32 v49, v7, v9 offset0:54 offset1:81
	ds_store_2addr_b32 v49, v8, v5 offset0:108 offset1:135
	;; [unrolled: 1-line block ×4, first 2 shown]
	global_wb scope:SCOPE_SE
	s_wait_dscnt 0x0
	s_wait_kmcnt 0x0
	s_barrier_signal -1
	s_barrier_wait -1
	global_inv scope:SCOPE_SE
	ds_load_2addr_b32 v[3:4], v49 offset0:108 offset1:135
	ds_load_2addr_b32 v[5:6], v49 offset0:162 offset1:189
	;; [unrolled: 1-line block ×4, first 2 shown]
	ds_load_2addr_b32 v[11:12], v49 offset1:27
	v_mul_lo_u16 v13, v2, 10
	global_wb scope:SCOPE_SE
	s_wait_dscnt 0x0
	s_barrier_signal -1
	s_barrier_wait -1
	global_inv scope:SCOPE_SE
	v_and_b32_e32 v13, 0xffff, v13
                                        ; kill: def $vgpr2 killed $sgpr0 killed $exec
	s_delay_alu instid0(VALU_DEP_1)
	v_lshl_add_u32 v64, v13, 2, v63
	v_lshrrev_b32_e32 v16, 16, v3
	v_add_f16_e32 v13, v3, v5
	v_lshrrev_b32_e32 v14, 16, v7
	v_lshrrev_b32_e32 v15, 16, v9
	;; [unrolled: 1-line block ×3, first 2 shown]
	v_sub_f16_e32 v18, v9, v5
	v_sub_f16_e32 v19, v7, v3
	v_add_f16_e32 v20, v7, v9
	v_sub_f16_e32 v21, v5, v9
	v_sub_f16_e32 v22, v3, v7
	v_pk_add_f16 v23, v11, v7
	v_add_f16_e32 v26, v4, v6
	v_lshrrev_b32_e32 v27, 16, v8
	v_lshrrev_b32_e32 v28, 16, v10
	;; [unrolled: 1-line block ×4, first 2 shown]
	v_add_f16_e32 v33, v8, v10
	v_pk_add_f16 v36, v12, v8
	v_lshrrev_b32_e32 v24, 16, v11
	v_sub_f16_e32 v25, v3, v5
	v_sub_f16_e32 v31, v10, v6
	;; [unrolled: 1-line block ×5, first 2 shown]
	v_lshrrev_b32_e32 v37, 16, v12
	v_sub_f16_e32 v38, v4, v6
	v_fma_f16 v13, -0.5, v13, v11
	v_sub_f16_e32 v39, v14, v15
	v_sub_f16_e32 v40, v16, v17
	v_add_f16_e32 v18, v19, v18
	v_fma_f16 v11, -0.5, v20, v11
	v_add_f16_e32 v19, v22, v21
	v_pk_add_f16 v3, v23, v3
	v_add_f16_e32 v20, v16, v17
	v_sub_f16_e32 v21, v14, v16
	v_sub_f16_e32 v22, v15, v17
	v_add_f16_e32 v23, v14, v15
	v_sub_f16_e32 v14, v16, v14
	v_sub_f16_e32 v15, v17, v15
	v_fma_f16 v16, -0.5, v26, v12
	v_sub_f16_e32 v17, v27, v28
	v_sub_f16_e32 v26, v29, v30
	v_fma_f16 v12, -0.5, v33, v12
	v_pk_add_f16 v4, v36, v4
	v_add_f16_e32 v33, v29, v30
	v_add_f16_e32 v36, v27, v28
	v_sub_f16_e32 v8, v8, v10
	v_add_f16_e32 v31, v32, v31
	v_add_f16_e32 v32, v35, v34
	v_sub_f16_e32 v34, v27, v29
	v_sub_f16_e32 v35, v28, v30
	;; [unrolled: 1-line block ×4, first 2 shown]
	v_pk_add_f16 v3, v3, v5
	v_fma_f16 v5, -0.5, v20, v24
	v_add_f16_e32 v20, v21, v22
	v_fmac_f16_e32 v24, -0.5, v23
	v_add_f16_e32 v14, v14, v15
	v_fmamk_f16 v15, v17, 0x3b9c, v16
	v_fmamk_f16 v21, v26, 0xbb9c, v12
	v_fmac_f16_e32 v12, 0x3b9c, v26
	v_pk_add_f16 v4, v4, v6
	v_fma_f16 v22, -0.5, v33, v37
	v_fmac_f16_e32 v37, -0.5, v36
	v_sub_f16_e32 v7, v7, v9
	v_fmac_f16_e32 v16, 0xbb9c, v17
	v_add_f16_e32 v27, v27, v28
	v_fmamk_f16 v28, v25, 0x3b9c, v24
	v_fmac_f16_e32 v24, 0xbb9c, v25
	v_fmac_f16_e32 v15, 0x38b4, v26
	;; [unrolled: 1-line block ×4, first 2 shown]
	v_pk_add_f16 v4, v4, v10
	v_fmamk_f16 v10, v8, 0xbb9c, v22
	v_fmamk_f16 v17, v38, 0x3b9c, v37
	v_fmac_f16_e32 v37, 0xbb9c, v38
	v_fmac_f16_e32 v22, 0x3b9c, v8
	v_fmamk_f16 v29, v39, 0x3b9c, v13
	v_fmac_f16_e32 v13, 0xbb9c, v39
	v_add_f16_e32 v23, v34, v35
	v_pk_add_f16 v6, v3, v9
	v_fmac_f16_e32 v16, 0xb8b4, v26
	v_fmac_f16_e32 v28, 0xb8b4, v7
	;; [unrolled: 1-line block ×9, first 2 shown]
	v_fmamk_f16 v30, v40, 0xbb9c, v11
	v_fmac_f16_e32 v11, 0x3b9c, v40
	v_fmac_f16_e32 v29, 0x38b4, v40
	;; [unrolled: 1-line block ×3, first 2 shown]
	v_fmamk_f16 v9, v7, 0xbb9c, v5
	v_fmac_f16_e32 v16, 0x34f2, v31
	v_fmac_f16_e32 v12, 0x34f2, v32
	v_pk_add_f16 v3, v6, v4
	v_pk_add_f16 v6, v6, v4 neg_lo:[0,1] neg_hi:[0,1]
	v_fmac_f16_e32 v28, 0x34f2, v14
	v_fmac_f16_e32 v24, 0x34f2, v14
	;; [unrolled: 1-line block ×5, first 2 shown]
	v_mul_f16_e32 v4, 0x3a79, v15
	v_mul_f16_e32 v14, 0xb8b4, v15
	v_fmac_f16_e32 v5, 0x3b9c, v7
	v_fmac_f16_e32 v22, 0x34f2, v23
	v_mul_f16_e32 v15, 0xbb9c, v21
	v_fmac_f16_e32 v30, 0x38b4, v39
	v_fmac_f16_e32 v11, 0xb8b4, v39
	;; [unrolled: 1-line block ×5, first 2 shown]
	v_mul_f16_e32 v7, 0x34f2, v12
	v_mul_f16_e32 v8, 0x3a79, v16
	v_fmac_f16_e32 v4, 0x38b4, v10
	v_mul_f16_e32 v18, 0x3b9c, v17
	v_fmac_f16_e32 v14, 0x3a79, v10
	;; [unrolled: 2-line block ×3, first 2 shown]
	v_fmac_f16_e32 v15, 0x34f2, v17
	v_mul_f16_e32 v17, 0x3a79, v22
	v_fmac_f16_e32 v30, 0x34f2, v19
	v_fmac_f16_e32 v11, 0x34f2, v19
	;; [unrolled: 1-line block ×3, first 2 shown]
	v_fma_f16 v7, v37, 0x3b9c, -v7
	v_fma_f16 v8, v22, 0x38b4, -v8
	v_fmac_f16_e32 v18, 0x34f2, v21
	v_fma_f16 v10, v12, 0xbb9c, -v10
	v_fmac_f16_e32 v5, 0x34f2, v20
	v_fma_f16 v12, v16, 0xb8b4, -v17
	v_add_f16_e32 v19, v29, v4
	v_add_f16_e32 v20, v11, v7
	v_add_f16_e32 v21, v13, v8
	v_add_f16_e32 v23, v9, v14
	v_add_f16_e32 v26, v28, v15
	v_sub_f16_e32 v11, v11, v7
	v_sub_f16_e32 v22, v13, v8
	;; [unrolled: 1-line block ×3, first 2 shown]
	v_add_f16_e32 v9, v30, v18
	v_add_f16_e32 v13, v24, v10
	v_sub_f16_e32 v16, v29, v4
	v_sub_f16_e32 v8, v28, v15
	v_add_f16_e32 v14, v5, v12
	v_sub_f16_e32 v15, v30, v18
	v_sub_f16_e32 v17, v24, v10
	;; [unrolled: 1-line block ×3, first 2 shown]
	v_pack_b32_f16 v4, v19, v23
	v_pack_b32_f16 v10, v20, v13
	;; [unrolled: 1-line block ×8, first 2 shown]
	ds_store_2addr_b64 v64, v[3:4], v[9:10] offset1:1
	ds_store_2addr_b64 v64, v[5:6], v[7:8] offset0:2 offset1:3
	ds_store_b64 v64, v[11:12] offset:32
	global_wb scope:SCOPE_SE
	s_wait_dscnt 0x0
	s_barrier_signal -1
	s_barrier_wait -1
	global_inv scope:SCOPE_SE
	ds_load_2addr_b32 v[12:13], v49 offset1:27
	ds_load_2addr_b32 v[10:11], v49 offset0:54 offset1:90
	ds_load_2addr_b32 v[18:19], v49 offset0:180 offset1:207
	ds_load_2addr_b32 v[14:15], v49 offset0:117 offset1:144
	ds_load_b32 v24, v49 offset:936
                                        ; implicit-def: $vgpr27
                                        ; implicit-def: $vgpr26
                                        ; implicit-def: $vgpr28
	s_and_saveexec_b32 s0, vcc_lo
	s_cbranch_execz .LBB0_3
; %bb.2:
	ds_load_2addr_b32 v[22:23], v49 offset0:81 offset1:171
	ds_load_b32 v26, v49 offset:1044
	s_wait_dscnt 0x1
	v_lshrrev_b32_e32 v25, 16, v22
	v_lshrrev_b32_e32 v27, 16, v23
	s_wait_dscnt 0x0
	v_lshrrev_b32_e32 v28, 16, v26
.LBB0_3:
	s_wait_alu 0xfffe
	s_or_b32 exec_lo, exec_lo, s0
	v_and_b32_e32 v2, 0xff, v56
	v_add_co_u32 v20, s0, v56, 27
	s_wait_alu 0xf1ff
	v_add_co_ci_u32_e64 v21, null, 0, 0, s0
	s_delay_alu instid0(VALU_DEP_3)
	v_mul_lo_u16 v2, 0xcd, v2
	v_add_co_u32 v16, s0, v56, 54
	v_and_b32_e32 v3, 0xff, v20
	s_wait_alu 0xf1ff
	v_add_co_ci_u32_e64 v17, null, 0, 0, s0
	v_lshrrev_b16 v29, 11, v2
	v_and_b32_e32 v34, 0xff, v16
	v_mul_lo_u16 v2, 0xcd, v3
	v_add_co_u32 v85, s0, 0x51, v56
	s_delay_alu instid0(VALU_DEP_4) | instskip(NEXT) | instid1(VALU_DEP_4)
	v_mul_lo_u16 v3, v29, 10
	v_mul_lo_u16 v4, 0xcd, v34
	s_delay_alu instid0(VALU_DEP_4) | instskip(NEXT) | instid1(VALU_DEP_4)
	v_lshrrev_b16 v30, 11, v2
	v_and_b32_e32 v35, 0xff, v85
	s_wait_dscnt 0x3
	v_lshrrev_b32_e32 v39, 16, v11
	v_sub_nc_u16 v32, v56, v3
	v_lshrrev_b16 v31, 11, v4
	v_mul_lo_u16 v2, v30, 10
	v_mul_lo_u16 v3, 0xcd, v35
	;; [unrolled: 1-line block ×3, first 2 shown]
	v_lshlrev_b16 v5, 1, v32
	v_mul_lo_u16 v4, v31, 10
	v_sub_nc_u16 v2, v20, v2
	v_lshrrev_b16 v3, 11, v3
	v_and_b32_e32 v31, 0xffff, v31
	v_and_b32_e32 v5, 0xfe, v5
	v_sub_nc_u16 v4, v16, v4
	v_and_b32_e32 v33, 0xff, v2
	v_mul_lo_u16 v2, v3, 10
	v_mad_u16 v29, v29, 30, v32
	v_lshlrev_b32_e32 v3, 2, v5
	v_and_b32_e32 v36, 0xff, v4
	v_lshlrev_b32_e32 v4, 3, v33
	v_sub_nc_u16 v37, v85, v2
	s_clause 0x1
	global_load_b64 v[8:9], v3, s[10:11]
	global_load_b64 v[6:7], v4, s[10:11]
	v_lshlrev_b32_e32 v2, 3, v36
	v_lshlrev_b16 v3, 1, v37
	v_and_b32_e32 v30, 0xfe, v30
	v_mul_u32_u24_e32 v31, 30, v31
	s_wait_dscnt 0x2
	v_lshrrev_b32_e32 v40, 16, v18
	global_load_b64 v[4:5], v2, s[10:11]
	v_and_b32_e32 v2, 0xfe, v3
	s_wait_dscnt 0x1
	v_lshrrev_b32_e32 v70, 16, v14
	v_lshrrev_b32_e32 v71, 16, v19
	v_and_b32_e32 v29, 0xff, v29
	v_add_nc_u32_e32 v30, v30, v33
	v_lshlrev_b32_e32 v2, 2, v2
	v_add_nc_u32_e32 v31, v31, v36
	v_lshrrev_b32_e32 v72, 16, v15
	s_wait_dscnt 0x0
	v_lshrrev_b32_e32 v33, 16, v24
	v_and_b32_e32 v66, 0xff, v37
	global_load_b64 v[2:3], v2, s[10:11]
	v_lshl_add_u32 v69, v29, 2, v63
	v_lshl_add_u32 v68, v30, 2, v63
	;; [unrolled: 1-line block ×3, first 2 shown]
	v_lshrrev_b32_e32 v38, 16, v12
	v_lshrrev_b32_e32 v32, 16, v10
	;; [unrolled: 1-line block ×3, first 2 shown]
	s_wait_alu 0xf1ff
	v_add_co_ci_u32_e64 v90, null, 0, 0, s0
	global_wb scope:SCOPE_SE
	s_wait_loadcnt 0x0
	s_barrier_signal -1
	s_barrier_wait -1
	global_inv scope:SCOPE_SE
	v_lshrrev_b32_e32 v80, 16, v8
	v_lshrrev_b32_e32 v79, 16, v9
	;; [unrolled: 1-line block ×4, first 2 shown]
	s_delay_alu instid0(VALU_DEP_4)
	v_mul_f16_e32 v29, v39, v80
	v_mul_f16_e32 v30, v11, v80
	v_lshrrev_b32_e32 v75, 16, v4
	v_lshrrev_b32_e32 v73, 16, v5
	v_mul_f16_e32 v31, v40, v79
	v_mul_f16_e32 v36, v18, v79
	;; [unrolled: 1-line block ×9, first 2 shown]
	v_lshrrev_b32_e32 v76, 16, v2
	v_lshrrev_b32_e32 v74, 16, v3
	v_mul_f16_e32 v88, v24, v73
	v_fma_f16 v11, v11, v8, -v29
	v_fmac_f16_e32 v30, v39, v8
	v_fma_f16 v18, v18, v9, -v31
	v_fmac_f16_e32 v36, v40, v9
	v_fma_f16 v14, v14, v6, -v37
	v_fma_f16 v19, v19, v7, -v82
	v_mul_f16_e32 v29, v27, v76
	v_mul_f16_e32 v31, v23, v76
	;; [unrolled: 1-line block ×4, first 2 shown]
	v_fmac_f16_e32 v81, v70, v6
	v_fmac_f16_e32 v83, v71, v7
	v_fma_f16 v15, v15, v4, -v84
	v_fmac_f16_e32 v86, v72, v4
	v_fma_f16 v24, v24, v5, -v87
	;; [unrolled: 2-line block ×4, first 2 shown]
	v_fmac_f16_e32 v39, v28, v3
	v_add_f16_e32 v27, v12, v11
	v_add_f16_e32 v28, v11, v18
	v_sub_f16_e32 v29, v30, v36
	v_add_f16_e32 v33, v38, v30
	v_add_f16_e32 v30, v30, v36
	;; [unrolled: 1-line block ×6, first 2 shown]
	v_sub_f16_e32 v84, v86, v88
	v_add_f16_e32 v87, v32, v86
	v_add_f16_e32 v86, v86, v88
	v_sub_f16_e32 v11, v11, v18
	v_add_f16_e32 v71, v41, v81
	v_sub_f16_e32 v14, v14, v19
	v_add_f16_e32 v18, v27, v18
	v_fma_f16 v12, -0.5, v28, v12
	v_add_f16_e32 v27, v33, v36
	v_fmac_f16_e32 v38, -0.5, v30
	v_add_f16_e32 v19, v37, v19
	v_fmac_f16_e32 v13, -0.5, v40
	v_add_f16_e32 v36, v23, v26
	v_sub_f16_e32 v37, v31, v39
	v_add_f16_e32 v40, v25, v31
	v_add_f16_e32 v31, v31, v39
	v_sub_f16_e32 v70, v81, v83
	v_fmac_f16_e32 v41, -0.5, v72
	v_add_f16_e32 v81, v10, v15
	v_sub_f16_e32 v15, v15, v24
	v_fmac_f16_e32 v10, -0.5, v82
	v_fmac_f16_e32 v32, -0.5, v86
	v_add_f16_e32 v28, v71, v83
	v_add_f16_e32 v33, v22, v23
	v_sub_f16_e32 v23, v23, v26
	v_fmamk_f16 v71, v29, 0x3aee, v12
	v_fmac_f16_e32 v12, 0xbaee, v29
	v_fmamk_f16 v29, v11, 0xbaee, v38
	v_fmac_f16_e32 v22, -0.5, v36
	v_fmac_f16_e32 v25, -0.5, v31
	v_fmac_f16_e32 v38, 0x3aee, v11
	v_fmamk_f16 v11, v70, 0x3aee, v13
	v_fmac_f16_e32 v13, 0xbaee, v70
	v_fmamk_f16 v70, v14, 0xbaee, v41
	v_fmac_f16_e32 v41, 0x3aee, v14
	v_add_f16_e32 v24, v81, v24
	v_add_f16_e32 v30, v87, v88
	v_fmamk_f16 v14, v84, 0x3aee, v10
	v_fmamk_f16 v72, v15, 0xbaee, v32
	v_fmac_f16_e32 v10, 0xbaee, v84
	v_fmac_f16_e32 v32, 0x3aee, v15
	v_add_f16_e32 v26, v33, v26
	v_add_f16_e32 v94, v40, v39
	v_pack_b32_f16 v15, v18, v27
	v_fmamk_f16 v27, v37, 0x3aee, v22
	v_fmac_f16_e32 v22, 0xbaee, v37
	v_fmamk_f16 v36, v23, 0xbaee, v25
	v_fmac_f16_e32 v25, 0x3aee, v23
	v_pack_b32_f16 v23, v71, v29
	v_pack_b32_f16 v12, v12, v38
	v_pack_b32_f16 v18, v19, v28
	v_pack_b32_f16 v11, v11, v70
	v_pack_b32_f16 v13, v13, v41
	v_pack_b32_f16 v19, v24, v30
	v_pack_b32_f16 v14, v14, v72
	v_pack_b32_f16 v10, v10, v32
	ds_store_2addr_b32 v69, v15, v23 offset1:10
	ds_store_b32 v69, v12 offset:80
	ds_store_2addr_b32 v68, v18, v11 offset1:10
	ds_store_b32 v68, v13 offset:80
	;; [unrolled: 2-line block ×3, first 2 shown]
	s_and_saveexec_b32 s0, vcc_lo
	s_cbranch_execz .LBB0_5
; %bb.4:
	v_lshl_add_u32 v10, v66, 2, v63
	v_perm_b32 v11, v94, v26, 0x5040100
	v_perm_b32 v12, v36, v27, 0x5040100
	;; [unrolled: 1-line block ×3, first 2 shown]
	ds_store_2addr_b32 v10, v11, v12 offset0:240 offset1:250
	ds_store_b32 v10, v13 offset:1040
.LBB0_5:
	s_wait_alu 0xfffe
	s_or_b32 exec_lo, exec_lo, s0
	global_wb scope:SCOPE_SE
	s_wait_dscnt 0x0
	s_barrier_signal -1
	s_barrier_wait -1
	global_inv scope:SCOPE_SE
	ds_load_2addr_b32 v[28:29], v49 offset1:27
	ds_load_2addr_b32 v[23:24], v49 offset0:54 offset1:90
	ds_load_2addr_b32 v[32:33], v49 offset0:180 offset1:207
	;; [unrolled: 1-line block ×3, first 2 shown]
	ds_load_b32 v37, v49 offset:936
	s_and_saveexec_b32 s0, vcc_lo
	s_cbranch_execz .LBB0_7
; %bb.6:
	ds_load_2addr_b32 v[26:27], v49 offset0:81 offset1:171
	ds_load_b32 v22, v49 offset:1044
	s_wait_dscnt 0x1
	v_lshrrev_b32_e32 v94, 16, v26
	v_lshrrev_b32_e32 v36, 16, v27
	s_wait_dscnt 0x0
	v_lshrrev_b32_e32 v25, 16, v22
.LBB0_7:
	s_wait_alu 0xfffe
	s_or_b32 exec_lo, exec_lo, s0
	v_add_co_u32 v10, s0, v56, -3
	v_mul_lo_u16 v14, 0x89, v34
	s_wait_alu 0xf1ff
	v_add_co_ci_u32_e64 v11, null, 0, -1, s0
	v_cmp_gt_u16_e64 s0, 3, v56
	v_lshlrev_b32_e32 v40, 3, v56
	v_lshrrev_b16 v34, 12, v14
	v_mul_lo_u16 v14, 0x89, v35
	s_wait_dscnt 0x3
	v_lshrrev_b32_e32 v83, 16, v24
	s_wait_alu 0xf1ff
	v_cndmask_b32_e64 v39, v11, v21, s0
	v_cndmask_b32_e64 v38, v10, v20, s0
	v_mul_lo_u16 v15, v34, 30
	v_lshrrev_b16 v14, 12, v14
	global_load_b64 v[12:13], v40, s[10:11] offset:80
	v_and_b32_e32 v34, 0xffff, v34
	v_lshlrev_b64_e32 v[10:11], 3, v[38:39]
	v_sub_nc_u16 v15, v16, v15
	v_mul_lo_u16 v14, v14, 30
	s_wait_dscnt 0x2
	v_lshrrev_b32_e32 v84, 16, v32
	v_mul_u32_u24_e32 v34, 0x5a, v34
	v_lshrrev_b32_e32 v91, 16, v28
	v_add_co_u32 v10, s0, s10, v10
	s_wait_alu 0xf1ff
	v_add_co_ci_u32_e64 v11, s0, s11, v11, s0
	v_and_b32_e32 v35, 0xff, v15
	v_sub_nc_u16 v39, v85, v14
	s_wait_dscnt 0x1
	v_lshrrev_b32_e32 v88, 16, v30
	global_load_b64 v[18:19], v[10:11], off offset:80
	v_lshrrev_b32_e32 v93, 16, v33
	v_lshlrev_b32_e32 v10, 3, v35
	v_lshlrev_b16 v11, 3, v39
	v_add_nc_u32_e32 v34, v34, v35
	v_and_b32_e32 v70, 0xff, v39
	v_lshrrev_b32_e32 v95, 16, v31
	global_load_b64 v[14:15], v10, s[10:11] offset:80
	v_and_b32_e32 v10, 0xf8, v11
	v_lshl_add_u32 v72, v34, 2, v63
	s_wait_dscnt 0x0
	v_lshrrev_b32_e32 v97, 16, v37
	v_lshrrev_b32_e32 v92, 16, v29
	v_lshrrev_b32_e32 v96, 16, v23
	v_add_co_u32 v10, s0, s10, v10
	s_wait_alu 0xf1ff
	v_add_co_ci_u32_e64 v11, null, s11, 0, s0
	v_cmp_lt_u16_e64 s0, 2, v56
	global_load_b64 v[10:11], v[10:11], off offset:80
	global_wb scope:SCOPE_SE
	s_wait_loadcnt 0x0
	s_wait_alu 0xf1ff
	v_cndmask_b32_e64 v41, 0, 0x5a, s0
	s_barrier_signal -1
	s_barrier_wait -1
	global_inv scope:SCOPE_SE
	v_add_co_u32 v40, s0, s10, v40
	v_add_nc_u32_e32 v38, v38, v41
	s_wait_alu 0xf1ff
	v_add_co_ci_u32_e64 v41, null, s11, 0, s0
	s_delay_alu instid0(VALU_DEP_2) | instskip(SKIP_2) | instid1(VALU_DEP_2)
	v_lshl_add_u32 v71, v38, 2, v63
	v_lshrrev_b32_e32 v81, 16, v12
	v_lshrrev_b32_e32 v82, 16, v13
	v_mul_f16_e32 v34, v83, v81
	v_mul_f16_e32 v35, v24, v81
	s_delay_alu instid0(VALU_DEP_3) | instskip(SKIP_1) | instid1(VALU_DEP_4)
	v_mul_f16_e32 v38, v84, v82
	v_mul_f16_e32 v39, v32, v82
	v_fma_f16 v24, v24, v12, -v34
	s_delay_alu instid0(VALU_DEP_4) | instskip(NEXT) | instid1(VALU_DEP_4)
	v_fmac_f16_e32 v35, v83, v12
	v_fma_f16 v32, v32, v13, -v38
	s_delay_alu instid0(VALU_DEP_4) | instskip(NEXT) | instid1(VALU_DEP_4)
	v_fmac_f16_e32 v39, v84, v13
	v_add_f16_e32 v34, v28, v24
	s_delay_alu instid0(VALU_DEP_4) | instskip(NEXT) | instid1(VALU_DEP_4)
	v_add_f16_e32 v83, v91, v35
	v_add_f16_e32 v38, v24, v32
	s_delay_alu instid0(VALU_DEP_4)
	v_sub_f16_e32 v84, v35, v39
	v_add_f16_e32 v35, v35, v39
	v_lshrrev_b32_e32 v89, 16, v18
	v_lshrrev_b32_e32 v86, 16, v19
	v_sub_f16_e32 v24, v24, v32
	v_add_f16_e32 v32, v34, v32
	v_fma_f16 v28, -0.5, v38, v28
	v_add_f16_e32 v34, v83, v39
	v_fmac_f16_e32 v91, -0.5, v35
	v_mul_f16_e32 v35, v88, v89
	v_mul_f16_e32 v38, v30, v89
	;; [unrolled: 1-line block ×4, first 2 shown]
	v_lshrrev_b32_e32 v87, 16, v14
	v_lshrrev_b32_e32 v83, 16, v15
	v_fmamk_f16 v99, v84, 0x3aee, v28
	v_fmac_f16_e32 v28, 0xbaee, v84
	v_fmamk_f16 v100, v24, 0xbaee, v91
	v_fmac_f16_e32 v91, 0x3aee, v24
	v_pack_b32_f16 v24, v32, v34
	v_fma_f16 v30, v30, v18, -v35
	v_fmac_f16_e32 v38, v88, v18
	v_fma_f16 v32, v33, v19, -v39
	v_fmac_f16_e32 v98, v93, v19
	v_mul_f16_e32 v33, v95, v87
	v_mul_f16_e32 v34, v31, v87
	;; [unrolled: 1-line block ×4, first 2 shown]
	v_lshrrev_b32_e32 v88, 16, v10
	v_lshrrev_b32_e32 v84, 16, v11
	v_pack_b32_f16 v93, v99, v100
	v_pack_b32_f16 v28, v28, v91
	v_add_f16_e32 v91, v29, v30
	v_sub_f16_e32 v100, v38, v98
	v_add_f16_e32 v101, v92, v38
	v_add_f16_e32 v38, v38, v98
	v_fma_f16 v31, v31, v14, -v33
	v_fmac_f16_e32 v34, v95, v14
	v_fma_f16 v33, v37, v15, -v35
	v_fmac_f16_e32 v39, v97, v15
	v_mul_f16_e32 v35, v36, v88
	v_mul_f16_e32 v37, v27, v88
	;; [unrolled: 1-line block ×4, first 2 shown]
	v_add_f16_e32 v99, v30, v32
	v_sub_f16_e32 v30, v30, v32
	ds_store_2addr_b32 v49, v24, v93 offset1:30
	ds_store_b32 v49, v28 offset:240
	v_add_f16_e32 v24, v91, v32
	v_fmac_f16_e32 v92, -0.5, v38
	v_fma_f16 v27, v27, v10, -v35
	v_fmac_f16_e32 v37, v36, v10
	v_fma_f16 v22, v22, v11, -v95
	v_fmac_f16_e32 v97, v25, v11
	v_add_f16_e32 v32, v31, v33
	v_add_f16_e32 v36, v96, v34
	v_fmac_f16_e32 v29, -0.5, v99
	v_sub_f16_e32 v35, v34, v39
	v_add_f16_e32 v34, v34, v39
	v_add_f16_e32 v28, v101, v98
	;; [unrolled: 1-line block ×3, first 2 shown]
	v_fmamk_f16 v91, v30, 0xbaee, v92
	v_fmac_f16_e32 v92, 0x3aee, v30
	v_fmac_f16_e32 v23, -0.5, v32
	v_add_f16_e32 v30, v36, v39
	v_add_f16_e32 v32, v27, v22
	;; [unrolled: 1-line block ×3, first 2 shown]
	v_sub_f16_e32 v31, v31, v33
	v_fmamk_f16 v38, v100, 0x3aee, v29
	v_fmac_f16_e32 v96, -0.5, v34
	v_fmac_f16_e32 v29, 0xbaee, v100
	v_pack_b32_f16 v24, v24, v28
	v_add_f16_e32 v25, v25, v33
	v_add_f16_e32 v28, v26, v27
	v_sub_f16_e32 v33, v37, v97
	v_add_f16_e32 v34, v94, v37
	v_sub_f16_e32 v37, v27, v22
	v_fmac_f16_e32 v26, -0.5, v32
	v_fmac_f16_e32 v94, -0.5, v36
	v_pack_b32_f16 v38, v38, v91
	v_fmamk_f16 v91, v35, 0x3aee, v23
	v_fmac_f16_e32 v23, 0xbaee, v35
	v_fmamk_f16 v35, v31, 0xbaee, v96
	v_fmac_f16_e32 v96, 0x3aee, v31
	v_pack_b32_f16 v39, v29, v92
	v_add_f16_e32 v28, v28, v22
	v_add_f16_e32 v95, v34, v97
	v_fmamk_f16 v29, v33, 0x3aee, v26
	v_fmac_f16_e32 v26, 0xbaee, v33
	v_fmamk_f16 v27, v37, 0xbaee, v94
	v_fmac_f16_e32 v94, 0x3aee, v37
	v_pack_b32_f16 v22, v25, v30
	v_pack_b32_f16 v25, v91, v35
	v_pack_b32_f16 v23, v23, v96
	ds_store_2addr_b32 v71, v24, v38 offset1:30
	ds_store_b32 v71, v39 offset:240
	ds_store_2addr_b32 v72, v22, v25 offset1:30
	ds_store_b32 v72, v23 offset:240
	s_and_saveexec_b32 s0, vcc_lo
	s_cbranch_execz .LBB0_9
; %bb.8:
	v_lshl_add_u32 v22, v70, 2, v63
	v_perm_b32 v23, v95, v28, 0x5040100
	v_perm_b32 v24, v27, v29, 0x5040100
	;; [unrolled: 1-line block ×3, first 2 shown]
	ds_store_2addr_b32 v22, v23, v24 offset0:180 offset1:210
	ds_store_b32 v22, v25 offset:960
.LBB0_9:
	s_wait_alu 0xfffe
	s_or_b32 exec_lo, exec_lo, s0
	global_wb scope:SCOPE_SE
	s_wait_dscnt 0x0
	s_barrier_signal -1
	s_barrier_wait -1
	global_inv scope:SCOPE_SE
	ds_load_2addr_b32 v[34:35], v49 offset1:27
	ds_load_2addr_b32 v[32:33], v49 offset0:54 offset1:90
	ds_load_2addr_b32 v[38:39], v49 offset0:180 offset1:207
	;; [unrolled: 1-line block ×3, first 2 shown]
	ds_load_b32 v96, v49 offset:936
	v_add_co_u32 v30, s0, s8, v65
	s_wait_alu 0xf1ff
	v_add_co_ci_u32_e64 v31, null, s9, 0, s0
	s_and_saveexec_b32 s0, vcc_lo
	s_cbranch_execz .LBB0_11
; %bb.10:
	ds_load_2addr_b32 v[28:29], v49 offset0:81 offset1:171
	ds_load_b32 v26, v49 offset:1044
	s_wait_dscnt 0x1
	v_lshrrev_b32_e32 v95, 16, v28
	v_lshrrev_b32_e32 v27, 16, v29
	s_wait_dscnt 0x0
	v_lshrrev_b32_e32 v94, 16, v26
.LBB0_11:
	s_wait_alu 0xfffe
	s_or_b32 exec_lo, exec_lo, s0
	v_lshlrev_b64_e32 v[20:21], 3, v[20:21]
	v_lshlrev_b64_e32 v[16:17], 3, v[16:17]
	global_load_b64 v[22:23], v[40:41], off offset:320
	s_wait_dscnt 0x2
	v_lshrrev_b32_e32 v91, 16, v38
	v_lshrrev_b32_e32 v97, 16, v34
	s_wait_dscnt 0x1
	v_lshrrev_b32_e32 v102, 16, v37
	v_add_co_u32 v20, s0, s10, v20
	s_wait_alu 0xf1ff
	v_add_co_ci_u32_e64 v21, s0, s11, v21, s0
	v_add_co_u32 v16, s0, s10, v16
	s_wait_alu 0xf1ff
	v_add_co_ci_u32_e64 v17, s0, s11, v17, s0
	v_lshrrev_b32_e32 v99, 16, v36
	s_clause 0x1
	global_load_b64 v[24:25], v[20:21], off offset:320
	global_load_b64 v[20:21], v[16:17], off offset:320
	v_add_co_u32 v16, s0, v56, -9
	s_wait_alu 0xf1ff
	v_add_co_ci_u32_e64 v17, null, 0, -1, s0
	v_lshrrev_b32_e32 v100, 16, v39
	s_delay_alu instid0(VALU_DEP_3)
	v_cndmask_b32_e32 v16, v16, v85, vcc_lo
	s_wait_dscnt 0x0
	v_lshrrev_b32_e32 v103, 16, v96
	v_cndmask_b32_e32 v17, v17, v90, vcc_lo
	v_lshrrev_b32_e32 v90, 16, v33
	v_lshrrev_b32_e32 v101, 16, v32
	;; [unrolled: 1-line block ×3, first 2 shown]
	v_lshl_add_u32 v40, v56, 2, v63
	v_lshlrev_b64_e32 v[16:17], 3, v[16:17]
	s_delay_alu instid0(VALU_DEP_1) | instskip(SKIP_1) | instid1(VALU_DEP_2)
	v_add_co_u32 v16, s0, s10, v16
	s_wait_alu 0xf1ff
	v_add_co_ci_u32_e64 v17, s0, s11, v17, s0
	global_load_b64 v[16:17], v[16:17], off offset:320
	s_wait_loadcnt 0x3
	v_lshrrev_b32_e32 v85, 16, v22
	v_lshrrev_b32_e32 v41, 16, v23
	s_delay_alu instid0(VALU_DEP_2) | instskip(SKIP_1) | instid1(VALU_DEP_3)
	v_mul_f16_e32 v92, v90, v85
	v_mul_f16_e32 v104, v33, v85
	;; [unrolled: 1-line block ×4, first 2 shown]
	s_delay_alu instid0(VALU_DEP_4) | instskip(NEXT) | instid1(VALU_DEP_4)
	v_fma_f16 v33, v33, v22, -v92
	v_fmac_f16_e32 v104, v90, v22
	s_delay_alu instid0(VALU_DEP_4) | instskip(NEXT) | instid1(VALU_DEP_4)
	v_fma_f16 v38, v38, v23, -v93
	v_fmac_f16_e32 v105, v91, v23
	s_wait_loadcnt 0x2
	v_lshrrev_b32_e32 v93, 16, v24
	s_wait_loadcnt 0x1
	v_lshrrev_b32_e32 v91, 16, v20
	v_lshrrev_b32_e32 v90, 16, v21
	;; [unrolled: 1-line block ×3, first 2 shown]
	v_add_f16_e32 v106, v34, v33
	v_add_f16_e32 v107, v33, v38
	v_sub_f16_e32 v108, v104, v105
	v_add_f16_e32 v109, v97, v104
	v_add_f16_e32 v104, v104, v105
	v_mul_f16_e32 v111, v36, v93
	v_mul_f16_e32 v114, v102, v91
	;; [unrolled: 1-line block ×4, first 2 shown]
	v_sub_f16_e32 v33, v33, v38
	v_mul_f16_e32 v110, v99, v93
	v_mul_f16_e32 v112, v100, v92
	;; [unrolled: 1-line block ×3, first 2 shown]
	v_add_f16_e32 v106, v106, v38
	v_fma_f16 v107, -0.5, v107, v34
	v_add_f16_e32 v34, v109, v105
	v_fmac_f16_e32 v97, -0.5, v104
	v_fmac_f16_e32 v111, v99, v24
	v_fma_f16 v99, v37, v20, -v114
	v_fmac_f16_e32 v115, v102, v20
	v_fmac_f16_e32 v117, v103, v21
	v_mul_f16_e32 v113, v39, v92
	s_wait_loadcnt 0x0
	v_lshrrev_b32_e32 v38, 16, v16
	v_lshrrev_b32_e32 v37, 16, v17
	v_fma_f16 v36, v36, v24, -v110
	v_fma_f16 v39, v39, v25, -v112
	;; [unrolled: 1-line block ×3, first 2 shown]
	v_fmamk_f16 v102, v33, 0xbaee, v97
	v_fmac_f16_e32 v97, 0x3aee, v33
	v_pack_b32_f16 v103, v106, v34
	v_mul_f16_e32 v104, v27, v38
	v_mul_f16_e32 v34, v29, v38
	v_mul_f16_e32 v105, v94, v37
	v_mul_f16_e32 v33, v26, v37
	v_sub_f16_e32 v118, v115, v117
	v_add_f16_e32 v119, v101, v115
	v_add_f16_e32 v115, v115, v117
	v_fmac_f16_e32 v113, v100, v25
	v_fmamk_f16 v100, v108, 0x3aee, v107
	v_fmac_f16_e32 v107, 0xbaee, v108
	v_add_f16_e32 v106, v35, v36
	v_add_f16_e32 v108, v36, v39
	;; [unrolled: 1-line block ×3, first 2 shown]
	v_sub_f16_e32 v112, v36, v39
	v_add_f16_e32 v114, v32, v99
	v_add_f16_e32 v116, v99, v96
	v_sub_f16_e32 v99, v99, v96
	v_fma_f16 v29, v29, v16, -v104
	v_fmac_f16_e32 v34, v27, v16
	v_fma_f16 v36, v26, v17, -v105
	v_fmac_f16_e32 v33, v94, v17
	v_fmac_f16_e32 v101, -0.5, v115
	v_sub_f16_e32 v109, v111, v113
	v_add_f16_e32 v111, v111, v113
	v_pack_b32_f16 v100, v100, v102
	v_add_f16_e32 v26, v106, v39
	v_add_f16_e32 v27, v110, v113
	v_add_f16_e32 v39, v114, v96
	v_add_f16_e32 v94, v119, v117
	v_fmamk_f16 v102, v99, 0xbaee, v101
	v_fmac_f16_e32 v101, 0x3aee, v99
	v_add_f16_e32 v99, v29, v36
	v_add_f16_e32 v105, v34, v33
	v_fmac_f16_e32 v35, -0.5, v108
	v_fmac_f16_e32 v98, -0.5, v111
	v_pack_b32_f16 v97, v107, v97
	v_fmac_f16_e32 v32, -0.5, v116
	v_sub_f16_e32 v104, v34, v33
	v_sub_f16_e32 v106, v29, v36
	v_pack_b32_f16 v107, v26, v27
	v_pack_b32_f16 v108, v39, v94
	v_fma_f16 v27, -0.5, v99, v28
	v_fma_f16 v39, -0.5, v105, v95
	ds_store_b32 v40, v100 offset:360
	ds_store_b32 v40, v97 offset:720
	v_fmamk_f16 v96, v109, 0x3aee, v35
	v_fmamk_f16 v97, v112, 0xbaee, v98
	v_fmac_f16_e32 v35, 0xbaee, v109
	v_fmac_f16_e32 v98, 0x3aee, v112
	v_fmamk_f16 v100, v118, 0x3aee, v32
	v_fmac_f16_e32 v32, 0xbaee, v118
	v_fmamk_f16 v26, v104, 0x3aee, v27
	v_fmac_f16_e32 v27, 0xbaee, v104
	v_fmamk_f16 v94, v106, 0xbaee, v39
	v_fmac_f16_e32 v39, 0x3aee, v106
	v_pack_b32_f16 v96, v96, v97
	v_pack_b32_f16 v35, v35, v98
	;; [unrolled: 1-line block ×4, first 2 shown]
	ds_store_2addr_b32 v49, v103, v107 offset1:27
	ds_store_b32 v40, v96 offset:468
	ds_store_b32 v40, v35 offset:828
	;; [unrolled: 1-line block ×3, first 2 shown]
	ds_store_2addr_b32 v49, v97, v32 offset0:144 offset1:234
	s_and_saveexec_b32 s0, vcc_lo
	s_cbranch_execz .LBB0_13
; %bb.12:
	v_add_f16_e32 v32, v95, v34
	v_add_f16_e32 v28, v28, v29
	s_delay_alu instid0(VALU_DEP_2) | instskip(NEXT) | instid1(VALU_DEP_2)
	v_add_f16_e32 v29, v32, v33
	v_add_f16_e32 v28, v28, v36
	v_perm_b32 v32, v94, v26, 0x5040100
	v_perm_b32 v33, v39, v27, 0x5040100
	s_delay_alu instid0(VALU_DEP_3)
	v_pack_b32_f16 v28, v28, v29
	v_add_nc_u32_e32 v29, 0x200, v40
	ds_store_b32 v49, v28 offset:324
	ds_store_2addr_b32 v29, v32, v33 offset0:43 offset1:133
.LBB0_13:
	s_wait_alu 0xfffe
	s_or_b32 exec_lo, exec_lo, s0
	s_add_nc_u64 s[0:1], s[8:9], 0x438
	global_wb scope:SCOPE_SE
	s_wait_dscnt 0x0
	s_barrier_signal -1
	s_barrier_wait -1
	global_inv scope:SCOPE_SE
	s_clause 0x9
	global_load_b32 v36, v[30:31], off offset:1080
	global_load_b32 v95, v65, s[0:1] offset:108
	global_load_b32 v96, v65, s[0:1] offset:216
	;; [unrolled: 1-line block ×9, first 2 shown]
	ds_load_2addr_b32 v[28:29], v49 offset1:27
	ds_load_2addr_b32 v[30:31], v49 offset0:54 offset1:108
	ds_load_b32 v103, v40 offset:324
	ds_load_2addr_b32 v[32:33], v49 offset0:135 offset1:162
	ds_load_2addr_b32 v[34:35], v49 offset0:189 offset1:216
	ds_load_b32 v104, v49 offset:972
	s_wait_dscnt 0x5
	v_lshrrev_b32_e32 v105, 16, v28
	v_lshrrev_b32_e32 v106, 16, v29
	s_wait_dscnt 0x4
	v_lshrrev_b32_e32 v107, 16, v30
	v_lshrrev_b32_e32 v109, 16, v31
	;; [unrolled: 3-line block ×4, first 2 shown]
	v_lshrrev_b32_e32 v108, 16, v103
	s_wait_dscnt 0x0
	v_lshrrev_b32_e32 v114, 16, v104
	s_wait_loadcnt 0x9
	v_lshrrev_b32_e32 v115, 16, v36
	s_wait_loadcnt 0x8
	;; [unrolled: 2-line block ×10, first 2 shown]
	v_lshrrev_b32_e32 v124, 16, v65
	v_mul_f16_e32 v125, v105, v115
	v_mul_f16_e32 v115, v28, v115
	;; [unrolled: 1-line block ×6, first 2 shown]
	v_mul_f16_e64 v129, v109, v119
	v_mul_f16_e32 v119, v31, v119
	v_mul_f16_e64 v130, v110, v120
	v_mul_f16_e32 v120, v32, v120
	;; [unrolled: 2-line block ×7, first 2 shown]
	v_fma_f16 v28, v28, v36, -v125
	v_fmac_f16_e32 v115, v105, v36
	v_fma_f16 v29, v29, v95, -v126
	v_fmac_f16_e32 v116, v106, v95
	;; [unrolled: 2-line block ×10, first 2 shown]
	v_pack_b32_f16 v28, v28, v115
	v_pack_b32_f16 v29, v29, v116
	;; [unrolled: 1-line block ×10, first 2 shown]
	ds_store_2addr_b32 v49, v28, v29 offset1:27
	ds_store_2addr_b32 v49, v30, v31 offset0:54 offset1:108
	ds_store_2addr_b32 v49, v32, v33 offset0:135 offset1:162
	;; [unrolled: 1-line block ×3, first 2 shown]
	ds_store_b32 v40, v36 offset:324
	ds_store_b32 v49, v65 offset:972
	global_wb scope:SCOPE_SE
	s_wait_dscnt 0x0
	s_barrier_signal -1
	s_barrier_wait -1
	global_inv scope:SCOPE_SE
	ds_load_2addr_b32 v[28:29], v49 offset0:54 offset1:108
	ds_load_2addr_b32 v[30:31], v49 offset0:135 offset1:162
	;; [unrolled: 1-line block ×3, first 2 shown]
	ds_load_2addr_b32 v[34:35], v49 offset1:27
	ds_load_b32 v36, v40 offset:324
	ds_load_b32 v65, v49 offset:972
	global_wb scope:SCOPE_SE
	s_wait_dscnt 0x0
	s_barrier_signal -1
	s_barrier_wait -1
	global_inv scope:SCOPE_SE
	v_lshrrev_b32_e32 v96, 16, v28
	v_add_f16_e32 v95, v29, v31
	v_lshrrev_b32_e32 v97, 16, v33
	v_lshrrev_b32_e32 v98, 16, v29
	v_lshrrev_b32_e32 v99, 16, v31
	v_sub_f16_e32 v100, v33, v31
	v_sub_f16_e32 v101, v28, v29
	v_add_f16_e32 v102, v28, v33
	v_sub_f16_e32 v103, v31, v33
	v_sub_f16_e32 v104, v29, v28
	v_pk_add_f16 v105, v34, v28
	v_add_f16_e32 v108, v30, v32
	v_lshrrev_b32_e32 v109, 16, v36
	v_lshrrev_b32_e32 v110, 16, v65
	;; [unrolled: 1-line block ×4, first 2 shown]
	v_add_f16_e32 v115, v36, v65
	v_pk_add_f16 v118, v35, v36
	v_lshrrev_b32_e32 v106, 16, v34
	v_sub_f16_e32 v107, v29, v31
	v_sub_f16_e32 v113, v36, v30
	;; [unrolled: 1-line block ×3, first 2 shown]
	v_lshrrev_b32_e32 v119, 16, v35
	v_sub_f16_e32 v120, v30, v32
	v_fma_f16 v95, -0.5, v95, v34
	v_sub_f16_e32 v121, v96, v97
	v_sub_f16_e32 v122, v98, v99
	v_add_f16_e32 v100, v101, v100
	v_fma_f16 v34, -0.5, v102, v34
	v_add_f16_e32 v101, v104, v103
	v_pk_add_f16 v29, v105, v29
	v_add_f16_e32 v102, v98, v99
	v_sub_f16_e32 v103, v96, v98
	v_sub_f16_e32 v104, v97, v99
	v_add_f16_e32 v105, v96, v97
	v_sub_f16_e32 v96, v98, v96
	v_sub_f16_e32 v97, v99, v97
	v_fma_f16 v98, -0.5, v108, v35
	v_sub_f16_e32 v99, v109, v110
	v_sub_f16_e32 v108, v111, v112
	v_fma_f16 v35, -0.5, v115, v35
	v_pk_add_f16 v30, v118, v30
	v_add_f16_e32 v115, v111, v112
	v_add_f16_e32 v118, v109, v110
	v_sub_f16_e32 v114, v65, v32
	v_sub_f16_e32 v117, v32, v65
	;; [unrolled: 1-line block ×3, first 2 shown]
	v_pk_add_f16 v29, v29, v31
	v_fma_f16 v31, -0.5, v102, v106
	v_add_f16_e32 v102, v103, v104
	v_add_f16_e32 v96, v96, v97
	v_fmamk_f16 v97, v99, 0xbb9c, v98
	v_fmamk_f16 v103, v108, 0x3b9c, v35
	v_fmac_f16_e32 v35, 0xbb9c, v108
	v_pk_add_f16 v30, v30, v32
	v_fma_f16 v104, -0.5, v115, v119
	v_fmac_f16_e32 v119, -0.5, v118
	v_add_f16_e32 v113, v113, v114
	v_add_f16_e32 v114, v116, v117
	v_sub_f16_e32 v116, v109, v111
	v_sub_f16_e32 v117, v110, v112
	;; [unrolled: 1-line block ×4, first 2 shown]
	v_fmac_f16_e32 v106, -0.5, v105
	v_fmac_f16_e32 v98, 0x3b9c, v99
	v_fmac_f16_e32 v97, 0xb8b4, v108
	;; [unrolled: 1-line block ×4, first 2 shown]
	v_pk_add_f16 v30, v30, v65
	v_fmamk_f16 v65, v36, 0x3b9c, v104
	v_fmamk_f16 v99, v120, 0xbb9c, v119
	v_fmac_f16_e32 v119, 0x3b9c, v120
	v_fmac_f16_e32 v104, 0xbb9c, v36
	v_sub_f16_e32 v28, v28, v33
	v_add_f16_e32 v105, v116, v117
	v_add_f16_e32 v109, v109, v110
	v_fmamk_f16 v110, v107, 0xbb9c, v106
	v_fmac_f16_e32 v106, 0x3b9c, v107
	v_fmac_f16_e32 v97, 0x34f2, v113
	;; [unrolled: 1-line block ×5, first 2 shown]
	v_fmamk_f16 v111, v121, 0xbb9c, v95
	v_fmac_f16_e32 v95, 0x3b9c, v121
	v_fmamk_f16 v112, v122, 0x3b9c, v34
	v_fmac_f16_e32 v34, 0xbb9c, v122
	v_fmac_f16_e32 v104, 0xb8b4, v120
	v_pk_add_f16 v32, v29, v33
	v_fmamk_f16 v33, v28, 0x3b9c, v31
	v_fmac_f16_e32 v31, 0xbb9c, v28
	v_fmac_f16_e32 v110, 0x38b4, v28
	;; [unrolled: 1-line block ×6, first 2 shown]
	v_mul_f16_e32 v28, 0x38b4, v97
	v_fmac_f16_e32 v111, 0xb8b4, v122
	v_fmac_f16_e32 v95, 0x38b4, v122
	;; [unrolled: 1-line block ×9, first 2 shown]
	v_pk_add_f16 v29, v32, v30
	v_pk_add_f16 v32, v32, v30 neg_lo:[0,1] neg_hi:[0,1]
	v_fmac_f16_e32 v110, 0x34f2, v96
	v_fmac_f16_e32 v106, 0x34f2, v96
	v_mul_f16_e32 v30, 0xb8b4, v65
	v_mul_f16_e32 v36, 0xbb9c, v99
	;; [unrolled: 1-line block ×3, first 2 shown]
	v_fmac_f16_e32 v28, 0x3a79, v65
	v_mul_f16_e32 v65, 0x34f2, v99
	v_mul_f16_e32 v99, 0xb4f2, v119
	v_fmac_f16_e32 v111, 0x34f2, v100
	v_fmac_f16_e32 v95, 0x34f2, v100
	;; [unrolled: 1-line block ×6, first 2 shown]
	v_mul_f16_e32 v100, 0xb8b4, v104
	v_mul_f16_e32 v101, 0xba79, v104
	v_fmac_f16_e32 v33, 0x34f2, v102
	v_fmac_f16_e32 v30, 0x3a79, v97
	v_fmac_f16_e32 v36, 0x34f2, v103
	v_fmac_f16_e32 v96, 0xb4f2, v35
	v_fmac_f16_e32 v65, 0x3b9c, v103
	v_fmac_f16_e32 v99, 0x3b9c, v35
	v_fmac_f16_e32 v31, 0x34f2, v102
	v_fmac_f16_e32 v100, 0xba79, v98
	v_fmac_f16_e32 v101, 0x38b4, v98
	v_add_f16_e32 v97, v33, v28
	v_sub_f16_e32 v35, v33, v28
	v_add_f16_e32 v98, v111, v30
	v_add_f16_e32 v33, v112, v36
	v_add_f16_e32 v102, v34, v96
	v_add_f16_e32 v104, v110, v65
	v_add_f16_e32 v105, v106, v99
	v_add_f16_e32 v103, v95, v100
	v_add_f16_e32 v107, v31, v101
	v_sub_f16_e32 v108, v111, v30
	v_sub_f16_e32 v36, v112, v36
	;; [unrolled: 1-line block ×7, first 2 shown]
	v_pack_b32_f16 v34, v102, v105
	v_pack_b32_f16 v33, v33, v104
	;; [unrolled: 1-line block ×8, first 2 shown]
	ds_store_2addr_b64 v64, v[29:30], v[33:34] offset1:1
	ds_store_2addr_b64 v64, v[31:32], v[35:36] offset0:2 offset1:3
	ds_store_b64 v64, v[95:96] offset:32
	global_wb scope:SCOPE_SE
	s_wait_dscnt 0x0
	s_barrier_signal -1
	s_barrier_wait -1
	global_inv scope:SCOPE_SE
	ds_load_2addr_b32 v[31:32], v49 offset1:27
	ds_load_2addr_b32 v[29:30], v49 offset0:54 offset1:90
	ds_load_2addr_b32 v[35:36], v49 offset0:180 offset1:207
	;; [unrolled: 1-line block ×3, first 2 shown]
	ds_load_b32 v64, v49 offset:936
	s_and_saveexec_b32 s0, vcc_lo
	s_cbranch_execz .LBB0_15
; %bb.14:
	v_add_nc_u32_e32 v26, 0x200, v49
	ds_load_b32 v28, v40 offset:324
	ds_load_2addr_b32 v[26:27], v26 offset0:43 offset1:133
	s_wait_dscnt 0x1
	v_lshrrev_b32_e32 v65, 16, v28
	s_wait_dscnt 0x0
	v_lshrrev_b32_e32 v94, 16, v26
	v_lshrrev_b32_e32 v39, 16, v27
.LBB0_15:
	s_wait_alu 0xfffe
	s_or_b32 exec_lo, exec_lo, s0
	s_wait_dscnt 0x3
	v_lshrrev_b32_e32 v96, 16, v30
	s_wait_dscnt 0x2
	v_lshrrev_b32_e32 v97, 16, v35
	;; [unrolled: 2-line block ×3, first 2 shown]
	v_lshrrev_b32_e32 v100, 16, v36
	v_lshrrev_b32_e32 v103, 16, v34
	v_mul_f16_e32 v102, v80, v96
	v_mul_f16_e32 v80, v80, v30
	;; [unrolled: 1-line block ×3, first 2 shown]
	s_wait_dscnt 0x0
	v_lshrrev_b32_e32 v104, 16, v64
	v_lshrrev_b32_e32 v95, 16, v31
	v_fmac_f16_e32 v102, v8, v30
	v_mul_f16_e32 v30, v79, v35
	v_mul_f16_e32 v79, v78, v99
	v_fmac_f16_e32 v105, v9, v35
	v_mul_f16_e32 v35, v78, v33
	v_fma_f16 v8, v8, v96, -v80
	v_fma_f16 v9, v9, v97, -v30
	v_mul_f16_e32 v30, v77, v100
	v_fmac_f16_e32 v79, v6, v33
	v_mul_f16_e32 v33, v77, v36
	v_fma_f16 v6, v6, v99, -v35
	v_mul_f16_e32 v35, v75, v103
	v_fmac_f16_e32 v30, v7, v36
	v_mul_f16_e32 v36, v75, v34
	;; [unrolled: 4-line block ×5, first 2 shown]
	v_fma_f16 v2, v2, v94, -v64
	v_add_f16_e32 v64, v102, v105
	v_fmac_f16_e32 v34, v3, v27
	v_lshrrev_b32_e32 v98, 16, v32
	v_fma_f16 v26, v3, v39, -v26
	v_add_f16_e32 v3, v8, v9
	v_sub_f16_e32 v39, v8, v9
	v_add_f16_e32 v8, v95, v8
	v_add_f16_e32 v27, v31, v102
	v_fma_f16 v31, -0.5, v64, v31
	v_fmac_f16_e32 v95, -0.5, v3
	v_sub_f16_e32 v3, v102, v105
	v_add_f16_e32 v8, v8, v9
	v_add_f16_e32 v9, v79, v30
	;; [unrolled: 1-line block ×3, first 2 shown]
	v_fmamk_f16 v73, v39, 0xbaee, v31
	v_fmac_f16_e32 v31, 0x3aee, v39
	v_fmamk_f16 v39, v3, 0x3aee, v95
	v_add_f16_e32 v27, v32, v79
	v_fmac_f16_e32 v95, 0xbaee, v3
	v_add_f16_e32 v3, v6, v7
	v_fmac_f16_e32 v32, -0.5, v9
	v_sub_f16_e32 v9, v6, v7
	v_add_f16_e32 v6, v98, v6
	v_lshrrev_b32_e32 v101, 16, v29
	v_fmac_f16_e32 v98, -0.5, v3
	v_sub_f16_e32 v3, v79, v30
	v_add_f16_e32 v74, v27, v30
	v_add_f16_e32 v6, v6, v7
	;; [unrolled: 1-line block ×3, first 2 shown]
	v_fmamk_f16 v30, v9, 0xbaee, v32
	v_fmac_f16_e32 v32, 0x3aee, v9
	v_fmamk_f16 v9, v3, 0x3aee, v98
	v_add_f16_e32 v27, v29, v35
	v_fmac_f16_e32 v98, 0xbaee, v3
	v_add_f16_e32 v3, v4, v5
	v_fmac_f16_e32 v29, -0.5, v7
	v_sub_f16_e32 v7, v4, v5
	v_add_f16_e32 v4, v101, v4
	v_add_f16_e32 v75, v27, v33
	v_fmac_f16_e32 v101, -0.5, v3
	v_sub_f16_e32 v3, v35, v33
	v_fmamk_f16 v33, v7, 0xbaee, v29
	v_add_f16_e32 v4, v4, v5
	v_add_f16_e32 v5, v36, v34
	v_fmac_f16_e32 v29, 0x3aee, v7
	v_fmamk_f16 v7, v3, 0x3aee, v101
	v_fmac_f16_e32 v101, 0xbaee, v3
	v_add_f16_e32 v3, v2, v26
	v_add_f16_e32 v27, v28, v36
	v_fmac_f16_e32 v28, -0.5, v5
	v_sub_f16_e32 v5, v2, v26
	v_add_f16_e32 v2, v65, v2
	v_fmac_f16_e32 v65, -0.5, v3
	v_sub_f16_e32 v35, v36, v34
	v_add_f16_e32 v3, v27, v34
	v_fmamk_f16 v27, v5, 0xbaee, v28
	v_fmac_f16_e32 v28, 0x3aee, v5
	v_pack_b32_f16 v5, v64, v8
	v_pack_b32_f16 v8, v73, v39
	v_add_f16_e32 v26, v2, v26
	v_fmamk_f16 v2, v35, 0x3aee, v65
	v_fmac_f16_e32 v65, 0xbaee, v35
	global_wb scope:SCOPE_SE
	s_barrier_signal -1
	s_barrier_wait -1
	global_inv scope:SCOPE_SE
	ds_store_2addr_b32 v69, v5, v8 offset1:10
	v_pack_b32_f16 v5, v31, v95
	v_pack_b32_f16 v6, v74, v6
	;; [unrolled: 1-line block ×7, first 2 shown]
	ds_store_b32 v69, v5 offset:80
	ds_store_2addr_b32 v68, v6, v8 offset1:10
	ds_store_b32 v68, v9 offset:80
	ds_store_2addr_b32 v67, v4, v7 offset1:10
	ds_store_b32 v67, v29 offset:80
	s_and_saveexec_b32 s0, vcc_lo
	s_cbranch_execz .LBB0_17
; %bb.16:
	v_lshl_add_u32 v4, v66, 2, v63
	v_perm_b32 v5, v26, v3, 0x5040100
	v_perm_b32 v6, v2, v27, 0x5040100
	;; [unrolled: 1-line block ×3, first 2 shown]
	ds_store_2addr_b32 v4, v5, v6 offset0:240 offset1:250
	ds_store_b32 v4, v7 offset:1040
.LBB0_17:
	s_wait_alu 0xfffe
	s_or_b32 exec_lo, exec_lo, s0
	global_wb scope:SCOPE_SE
	s_wait_dscnt 0x0
	s_barrier_signal -1
	s_barrier_wait -1
	global_inv scope:SCOPE_SE
	ds_load_2addr_b32 v[6:7], v49 offset1:27
	ds_load_2addr_b32 v[4:5], v49 offset0:54 offset1:90
	ds_load_2addr_b32 v[29:30], v49 offset0:180 offset1:207
	;; [unrolled: 1-line block ×3, first 2 shown]
	ds_load_b32 v31, v49 offset:936
	s_and_saveexec_b32 s0, vcc_lo
	s_cbranch_execz .LBB0_19
; %bb.18:
	v_add_nc_u32_e32 v2, 0x200, v49
	ds_load_b32 v3, v40 offset:324
	ds_load_2addr_b32 v[27:28], v2 offset0:43 offset1:133
	s_wait_dscnt 0x1
	v_lshrrev_b32_e32 v26, 16, v3
	s_wait_dscnt 0x0
	v_lshrrev_b32_e32 v2, 16, v27
	v_lshrrev_b32_e32 v65, 16, v28
.LBB0_19:
	s_wait_alu 0xfffe
	s_or_b32 exec_lo, exec_lo, s0
	s_wait_dscnt 0x3
	v_lshrrev_b32_e32 v33, 16, v5
	s_wait_dscnt 0x2
	v_lshrrev_b32_e32 v34, 16, v29
	;; [unrolled: 2-line block ×3, first 2 shown]
	v_mul_f16_e32 v68, v81, v5
	v_lshrrev_b32_e32 v39, 16, v30
	v_mul_f16_e32 v66, v81, v33
	v_mul_f16_e32 v73, v82, v34
	v_lshrrev_b32_e32 v67, 16, v9
	s_wait_dscnt 0x0
	v_lshrrev_b32_e32 v69, 16, v31
	v_lshrrev_b32_e32 v32, 16, v6
	v_fmac_f16_e32 v66, v12, v5
	v_mul_f16_e32 v5, v82, v29
	v_fma_f16 v12, v12, v33, -v68
	v_mul_f16_e32 v33, v89, v36
	v_fmac_f16_e32 v73, v13, v29
	v_mul_f16_e32 v29, v89, v8
	v_fma_f16 v5, v13, v34, -v5
	v_mul_f16_e32 v13, v86, v39
	;; [unrolled: 4-line block ×6, first 2 shown]
	v_fmac_f16_e32 v30, v10, v27
	v_mul_f16_e32 v27, v84, v28
	v_fma_f16 v2, v10, v2, -v31
	v_add_f16_e32 v10, v66, v73
	v_fmac_f16_e32 v15, v11, v28
	v_add_f16_e32 v28, v6, v66
	v_fma_f16 v11, v11, v65, -v27
	v_add_f16_e32 v27, v12, v5
	v_fma_f16 v6, -0.5, v10, v6
	v_sub_f16_e32 v10, v12, v5
	v_add_f16_e32 v12, v32, v12
	v_lshrrev_b32_e32 v35, 16, v7
	v_fmac_f16_e32 v32, -0.5, v27
	v_sub_f16_e32 v27, v66, v73
	v_fmamk_f16 v31, v10, 0xbaee, v6
	v_fmac_f16_e32 v6, 0x3aee, v10
	v_add_f16_e32 v10, v33, v13
	v_add_f16_e32 v5, v12, v5
	v_fmamk_f16 v34, v27, 0x3aee, v32
	v_add_f16_e32 v12, v7, v33
	v_fmac_f16_e32 v32, 0xbaee, v27
	v_add_f16_e32 v27, v18, v8
	v_fmac_f16_e32 v7, -0.5, v10
	v_sub_f16_e32 v10, v18, v8
	v_add_f16_e32 v36, v12, v13
	v_add_f16_e32 v12, v35, v18
	v_fmac_f16_e32 v35, -0.5, v27
	v_sub_f16_e32 v13, v33, v13
	v_fmamk_f16 v18, v10, 0xbaee, v7
	v_fmac_f16_e32 v7, 0x3aee, v10
	v_add_f16_e32 v10, v29, v19
	v_lshrrev_b32_e32 v64, 16, v4
	v_add_f16_e32 v8, v12, v8
	v_fmamk_f16 v27, v13, 0x3aee, v35
	v_add_f16_e32 v12, v4, v29
	v_fmac_f16_e32 v35, 0xbaee, v13
	v_add_f16_e32 v13, v14, v9
	v_fmac_f16_e32 v4, -0.5, v10
	v_sub_f16_e32 v10, v14, v9
	v_add_f16_e32 v33, v12, v19
	v_add_f16_e32 v12, v64, v14
	v_fmac_f16_e32 v64, -0.5, v13
	v_sub_f16_e32 v13, v29, v19
	v_fmamk_f16 v19, v10, 0xbaee, v4
	v_fmac_f16_e32 v4, 0x3aee, v10
	v_add_f16_e32 v10, v30, v15
	v_add_f16_e32 v28, v28, v73
	;; [unrolled: 1-line block ×3, first 2 shown]
	v_fmamk_f16 v29, v13, 0x3aee, v64
	v_fmac_f16_e32 v64, 0xbaee, v13
	v_add_f16_e32 v12, v2, v11
	v_add_f16_e32 v13, v3, v30
	v_fmac_f16_e32 v3, -0.5, v10
	v_sub_f16_e32 v10, v2, v11
	v_add_f16_e32 v14, v26, v2
	v_fmac_f16_e32 v26, -0.5, v12
	v_sub_f16_e32 v30, v30, v15
	v_pack_b32_f16 v5, v28, v5
	v_fmamk_f16 v2, v10, 0xbaee, v3
	v_fmac_f16_e32 v3, 0x3aee, v10
	v_pack_b32_f16 v10, v31, v34
	v_add_f16_e32 v12, v13, v15
	v_add_f16_e32 v13, v14, v11
	v_fmamk_f16 v14, v30, 0x3aee, v26
	v_fmac_f16_e32 v26, 0xbaee, v30
	global_wb scope:SCOPE_SE
	s_barrier_signal -1
	s_barrier_wait -1
	global_inv scope:SCOPE_SE
	ds_store_2addr_b32 v49, v5, v10 offset1:30
	v_pack_b32_f16 v5, v6, v32
	v_pack_b32_f16 v6, v36, v8
	;; [unrolled: 1-line block ×7, first 2 shown]
	ds_store_b32 v49, v5 offset:240
	ds_store_2addr_b32 v71, v6, v8 offset1:30
	ds_store_b32 v71, v7 offset:240
	ds_store_2addr_b32 v72, v9, v10 offset1:30
	ds_store_b32 v72, v4 offset:240
	s_and_saveexec_b32 s0, vcc_lo
	s_cbranch_execz .LBB0_21
; %bb.20:
	v_lshl_add_u32 v4, v70, 2, v63
	v_perm_b32 v5, v13, v12, 0x5040100
	v_perm_b32 v6, v14, v2, 0x5040100
	v_perm_b32 v7, v26, v3, 0x5040100
	ds_store_2addr_b32 v4, v5, v6 offset0:180 offset1:210
	ds_store_b32 v4, v7 offset:960
.LBB0_21:
	s_wait_alu 0xfffe
	s_or_b32 exec_lo, exec_lo, s0
	global_wb scope:SCOPE_SE
	s_wait_dscnt 0x0
	s_barrier_signal -1
	s_barrier_wait -1
	global_inv scope:SCOPE_SE
	ds_load_2addr_b32 v[6:7], v49 offset1:27
	ds_load_2addr_b32 v[4:5], v49 offset0:54 offset1:90
	ds_load_2addr_b32 v[10:11], v49 offset0:180 offset1:207
	;; [unrolled: 1-line block ×3, first 2 shown]
	ds_load_b32 v18, v49 offset:936
	v_add_nc_u32_e32 v15, 0xd8, v49
	s_and_saveexec_b32 s0, vcc_lo
	s_cbranch_execz .LBB0_23
; %bb.22:
	v_add_nc_u32_e32 v2, 0x200, v49
	ds_load_b32 v12, v40 offset:324
	ds_load_2addr_b32 v[2:3], v2 offset0:43 offset1:133
	s_wait_dscnt 0x1
	v_lshrrev_b32_e32 v13, 16, v12
	s_wait_dscnt 0x0
	v_lshrrev_b32_e32 v14, 16, v2
	v_lshrrev_b32_e32 v26, 16, v3
.LBB0_23:
	s_wait_alu 0xfffe
	s_or_b32 exec_lo, exec_lo, s0
	s_wait_dscnt 0x3
	v_lshrrev_b32_e32 v27, 16, v5
	s_wait_dscnt 0x2
	v_lshrrev_b32_e32 v28, 16, v10
	;; [unrolled: 2-line block ×3, first 2 shown]
	v_mul_f16_e32 v35, v85, v5
	v_lshrrev_b32_e32 v31, 16, v11
	v_mul_f16_e32 v33, v85, v27
	v_mul_f16_e32 v39, v41, v28
	v_lshrrev_b32_e32 v34, 16, v9
	s_wait_dscnt 0x0
	v_lshrrev_b32_e32 v36, 16, v18
	v_lshrrev_b32_e32 v19, 16, v6
	v_fmac_f16_e32 v33, v22, v5
	v_mul_f16_e32 v5, v41, v10
	v_fma_f16 v22, v22, v27, -v35
	v_mul_f16_e32 v27, v93, v30
	v_fmac_f16_e32 v39, v23, v10
	v_mul_f16_e32 v10, v93, v8
	v_fma_f16 v5, v23, v28, -v5
	v_mul_f16_e32 v23, v92, v31
	;; [unrolled: 4-line block ×4, first 2 shown]
	v_fmac_f16_e32 v24, v20, v9
	v_mul_f16_e32 v9, v90, v18
	v_fma_f16 v11, v20, v34, -v11
	v_add_f16_e32 v20, v33, v39
	v_fmac_f16_e32 v25, v21, v18
	v_add_f16_e32 v18, v6, v33
	v_fma_f16 v9, v21, v36, -v9
	v_add_f16_e32 v21, v22, v5
	v_fma_f16 v6, -0.5, v20, v6
	v_sub_f16_e32 v20, v22, v5
	v_add_f16_e32 v22, v19, v22
	v_lshrrev_b32_e32 v29, 16, v7
	v_fmac_f16_e32 v19, -0.5, v21
	v_sub_f16_e32 v21, v33, v39
	v_fmamk_f16 v28, v20, 0xbaee, v6
	v_fmac_f16_e32 v6, 0x3aee, v20
	v_add_f16_e32 v5, v22, v5
	v_add_f16_e32 v20, v27, v23
	v_fmamk_f16 v22, v21, 0x3aee, v19
	v_fmac_f16_e32 v19, 0xbaee, v21
	v_add_f16_e32 v21, v10, v8
	v_add_f16_e32 v30, v7, v27
	v_fmac_f16_e32 v7, -0.5, v20
	v_sub_f16_e32 v20, v10, v8
	v_add_f16_e32 v10, v29, v10
	v_fmac_f16_e32 v29, -0.5, v21
	v_sub_f16_e32 v21, v27, v23
	v_lshrrev_b32_e32 v32, 16, v4
	v_add_f16_e32 v27, v24, v25
	v_add_f16_e32 v8, v10, v8
	;; [unrolled: 1-line block ×3, first 2 shown]
	v_fmamk_f16 v10, v21, 0x3aee, v29
	v_fmac_f16_e32 v29, 0xbaee, v21
	v_add_f16_e32 v21, v11, v9
	v_add_f16_e32 v30, v30, v23
	v_fmamk_f16 v23, v20, 0xbaee, v7
	v_fmac_f16_e32 v7, 0x3aee, v20
	v_add_f16_e32 v20, v4, v24
	v_fmac_f16_e32 v4, -0.5, v27
	v_sub_f16_e32 v27, v11, v9
	v_add_f16_e32 v11, v32, v11
	v_fmac_f16_e32 v32, -0.5, v21
	v_sub_f16_e32 v21, v24, v25
	v_pack_b32_f16 v5, v18, v5
	v_pack_b32_f16 v6, v6, v19
	v_add_f16_e32 v9, v11, v9
	v_pack_b32_f16 v11, v28, v22
	v_add_f16_e32 v20, v20, v25
	v_fmamk_f16 v31, v27, 0xbaee, v4
	v_fmac_f16_e32 v4, 0x3aee, v27
	v_fmamk_f16 v18, v21, 0x3aee, v32
	v_fmac_f16_e32 v32, 0xbaee, v21
	ds_store_b32 v49, v5
	ds_store_b32 v40, v11 offset:360
	ds_store_b32 v40, v6 offset:720
	v_pack_b32_f16 v5, v30, v8
	v_pack_b32_f16 v6, v23, v10
	v_pack_b32_f16 v7, v7, v29
	v_pack_b32_f16 v8, v20, v9
	v_pack_b32_f16 v9, v31, v18
	v_pack_b32_f16 v4, v4, v32
	ds_store_b32 v49, v5 offset:108
	ds_store_b32 v40, v6 offset:468
	;; [unrolled: 1-line block ×4, first 2 shown]
	ds_store_2addr_b32 v15, v9, v4 offset0:90 offset1:180
	s_and_saveexec_b32 s0, vcc_lo
	s_cbranch_execz .LBB0_25
; %bb.24:
	v_mul_f16_e32 v4, v38, v2
	v_mul_f16_e32 v5, v37, v3
	;; [unrolled: 1-line block ×4, first 2 shown]
	s_delay_alu instid0(VALU_DEP_4) | instskip(NEXT) | instid1(VALU_DEP_4)
	v_fma_f16 v4, v16, v14, -v4
	v_fma_f16 v5, v17, v26, -v5
	s_delay_alu instid0(VALU_DEP_4) | instskip(NEXT) | instid1(VALU_DEP_4)
	v_fmac_f16_e32 v6, v16, v2
	v_fmac_f16_e32 v7, v17, v3
	s_delay_alu instid0(VALU_DEP_4) | instskip(NEXT) | instid1(VALU_DEP_4)
	v_add_f16_e32 v9, v13, v4
	v_add_f16_e32 v2, v4, v5
	v_sub_f16_e32 v4, v4, v5
	s_delay_alu instid0(VALU_DEP_4)
	v_add_f16_e32 v8, v6, v7
	v_sub_f16_e32 v3, v6, v7
	v_add_f16_e32 v6, v12, v6
	v_fma_f16 v2, -0.5, v2, v13
	v_add_f16_e32 v5, v9, v5
	v_fma_f16 v8, -0.5, v8, v12
	s_delay_alu instid0(VALU_DEP_4) | instskip(NEXT) | instid1(VALU_DEP_4)
	v_add_f16_e32 v6, v6, v7
	v_fmamk_f16 v7, v3, 0xbaee, v2
	v_fmac_f16_e32 v2, 0x3aee, v3
	s_delay_alu instid0(VALU_DEP_4) | instskip(SKIP_3) | instid1(VALU_DEP_4)
	v_fmamk_f16 v3, v4, 0x3aee, v8
	v_fmac_f16_e32 v8, 0xbaee, v4
	v_pack_b32_f16 v4, v6, v5
	v_add_nc_u32_e32 v5, 0x200, v40
	v_pack_b32_f16 v3, v3, v7
	s_delay_alu instid0(VALU_DEP_4)
	v_pack_b32_f16 v2, v8, v2
	ds_store_b32 v40, v4 offset:324
	ds_store_2addr_b32 v5, v2, v3 offset0:43 offset1:133
.LBB0_25:
	s_wait_alu 0xfffe
	s_or_b32 exec_lo, exec_lo, s0
	global_wb scope:SCOPE_SE
	s_wait_dscnt 0x0
	s_barrier_signal -1
	s_barrier_wait -1
	global_inv scope:SCOPE_SE
	ds_load_2addr_b32 v[4:5], v49 offset1:27
	ds_load_2addr_b32 v[2:3], v49 offset0:54 offset1:108
	s_mov_b32 s8, 0xc901e574
	s_mov_b32 s9, 0x3f6e573a
	s_wait_dscnt 0x1
	v_lshrrev_b32_e32 v6, 16, v4
	v_mul_f16_e32 v7, v62, v4
	v_lshrrev_b32_e32 v8, 16, v5
	v_mul_f16_e32 v9, v61, v5
	s_wait_dscnt 0x0
	v_lshrrev_b32_e32 v12, 16, v2
	v_mul_f16_e32 v10, v62, v6
	v_fma_f16 v7, v58, v6, -v7
	v_fma_f16 v6, v59, v8, -v9
	v_mul_f16_e32 v8, v61, v8
	s_delay_alu instid0(VALU_DEP_4) | instskip(NEXT) | instid1(VALU_DEP_4)
	v_fmac_f16_e32 v10, v58, v4
	v_cvt_f32_f16_e32 v7, v7
	s_delay_alu instid0(VALU_DEP_4) | instskip(NEXT) | instid1(VALU_DEP_4)
	v_cvt_f32_f16_e32 v4, v6
	v_fmac_f16_e32 v8, v59, v5
	s_delay_alu instid0(VALU_DEP_4) | instskip(NEXT) | instid1(VALU_DEP_4)
	v_cvt_f32_f16_e32 v9, v10
	v_cvt_f64_f32_e32 v[6:7], v7
	s_delay_alu instid0(VALU_DEP_4) | instskip(NEXT) | instid1(VALU_DEP_4)
	v_cvt_f64_f32_e32 v[14:15], v4
	v_cvt_f32_f16_e32 v5, v8
	s_delay_alu instid0(VALU_DEP_4) | instskip(SKIP_1) | instid1(VALU_DEP_3)
	v_cvt_f64_f32_e32 v[20:21], v9
	v_mul_f16_e32 v4, v60, v12
	v_cvt_f64_f32_e32 v[8:9], v5
	s_delay_alu instid0(VALU_DEP_2) | instskip(SKIP_1) | instid1(VALU_DEP_2)
	v_fmac_f16_e32 v4, v0, v2
	v_mul_f16_e32 v2, v60, v2
	v_cvt_f32_f16_e32 v4, v4
	s_delay_alu instid0(VALU_DEP_2) | instskip(SKIP_4) | instid1(VALU_DEP_1)
	v_fma_f16 v0, v0, v12, -v2
	ds_load_b32 v2, v40 offset:324
	v_mad_co_u64_u32 v[12:13], null, s6, v1, 0
	v_cvt_f64_f32_e32 v[10:11], v4
	v_cvt_f32_f16_e32 v0, v0
	v_cvt_f64_f32_e32 v[18:19], v0
	s_wait_alu 0xfffe
	v_mul_f64_e32 v[16:17], s[8:9], v[6:7]
	v_mad_co_u64_u32 v[6:7], null, s4, v56, 0
	v_mul_f64_e32 v[4:5], s[8:9], v[14:15]
	v_mul_f64_e32 v[14:15], s[8:9], v[20:21]
	;; [unrolled: 1-line block ×5, first 2 shown]
	v_bfe_u32 v23, v17, 20, 11
	v_and_or_b32 v4, 0x1ff, v5, v4
	v_and_or_b32 v14, 0x1ff, v15, v14
	v_bfe_u32 v27, v15, 20, 11
	v_lshrrev_b32_e32 v26, 8, v15
	v_sub_nc_u32_e32 v28, 0x3f1, v23
	v_mad_co_u64_u32 v[20:21], null, s5, v56, v[7:8]
	v_mov_b32_e32 v0, v13
	v_bfe_u32 v30, v9, 20, 11
	v_and_or_b32 v8, 0x1ff, v9, v8
	v_sub_nc_u32_e32 v34, 0x3f1, v27
	v_lshrrev_b32_e32 v24, 8, v5
	v_bfe_u32 v25, v5, 20, 11
	v_mov_b32_e32 v7, v20
	v_mad_co_u64_u32 v[0:1], null, s7, v1, v[0:1]
	ds_load_b32 v1, v49 offset:972
	s_wait_dscnt 0x1
	v_lshrrev_b32_e32 v22, 16, v2
	v_and_or_b32 v10, 0x1ff, v11, v10
	v_add_nc_u32_e32 v23, 0xfffffc10, v23
	v_lshrrev_b32_e32 v29, 8, v9
	v_lshrrev_b32_e32 v32, 8, v11
	v_mov_b32_e32 v13, v0
	v_mul_f16_e32 v0, v57, v22
	v_sub_nc_u32_e32 v31, 0x3f1, v25
	v_add_nc_u32_e32 v27, 0xfffffc10, v27
	v_lshrrev_b32_e32 v15, 16, v15
	v_lshlrev_b64_e32 v[12:13], 2, v[12:13]
	v_fmac_f16_e32 v0, v54, v2
	v_bfe_u32 v33, v11, 20, 11
	v_lshrrev_b32_e32 v9, 16, v9
	v_mul_f16_e32 v2, v57, v2
	v_lshlrev_b64_e32 v[6:7], 2, v[6:7]
	v_cvt_f32_f16_e32 v0, v0
	v_add_co_u32 v20, vcc_lo, s2, v12
	s_wait_alu 0xfffd
	v_add_co_ci_u32_e32 v21, vcc_lo, s3, v13, vcc_lo
	s_delay_alu instid0(VALU_DEP_3)
	v_cvt_f64_f32_e32 v[12:13], v0
	v_and_or_b32 v0, 0x1ff, v17, v16
	v_lshrrev_b32_e32 v16, 8, v17
	v_lshrrev_b32_e32 v17, 16, v17
	v_fma_f16 v2, v54, v22, -v2
	v_lshrrev_b32_e32 v11, 16, v11
	v_cmp_ne_u32_e32 vcc_lo, 0, v0
	s_delay_alu instid0(VALU_DEP_3) | instskip(SKIP_3) | instid1(VALU_DEP_2)
	v_cvt_f32_f16_e32 v2, v2
	s_wait_alu 0xfffd
	v_cndmask_b32_e64 v0, 0, 1, vcc_lo
	v_cmp_ne_u32_e32 vcc_lo, 0, v4
	v_and_or_b32 v0, 0xffe, v16, v0
	s_wait_alu 0xfffd
	v_cndmask_b32_e64 v4, 0, 1, vcc_lo
	v_cmp_ne_u32_e32 vcc_lo, 0, v14
	v_med3_i32 v16, v28, 0, 13
	v_sub_nc_u32_e32 v28, 0x3f1, v30
	v_lshl_or_b32 v35, v23, 12, v0
	v_and_or_b32 v4, 0xffe, v24, v4
	s_wait_alu 0xfffd
	v_cndmask_b32_e64 v14, 0, 1, vcc_lo
	v_cmp_ne_u32_e32 vcc_lo, 0, v8
	v_add_nc_u32_e32 v30, 0xfffffc10, v30
	v_med3_i32 v24, v31, 0, 13
	v_med3_i32 v28, v28, 0, 13
	v_and_or_b32 v14, 0xffe, v26, v14
	s_wait_alu 0xfffd
	v_cndmask_b32_e64 v8, 0, 1, vcc_lo
	v_cmp_ne_u32_e32 vcc_lo, 0, v10
	v_med3_i32 v26, v34, 0, 13
	v_or_b32_e32 v34, 0x1000, v0
	v_lshl_or_b32 v37, v27, 12, v14
	v_and_or_b32 v8, 0xffe, v29, v8
	s_wait_alu 0xfffd
	v_cndmask_b32_e64 v10, 0, 1, vcc_lo
	v_cmp_ne_u32_e32 vcc_lo, 0, v0
	v_lshrrev_b32_e32 v38, v16, v34
	v_or_b32_e32 v29, 0x1000, v4
	v_or_b32_e32 v39, 0x1000, v8
	v_and_or_b32 v10, 0xffe, v32, v10
	s_wait_alu 0xfffd
	v_cndmask_b32_e64 v0, 0, 1, vcc_lo
	v_or_b32_e32 v32, 0x1000, v14
	v_cmp_ne_u32_e32 vcc_lo, 0, v14
	v_lshlrev_b32_e32 v16, v16, v38
	v_lshl_or_b32 v40, v30, 12, v8
	v_lshrrev_b32_e32 v41, v24, v29
	v_lshrrev_b32_e32 v56, v26, v32
	s_wait_alu 0xfffd
	v_cndmask_b32_e64 v14, 0, 1, vcc_lo
	v_cmp_ne_u32_e32 vcc_lo, 0, v8
	v_lshrrev_b32_e32 v58, v28, v39
	v_lshlrev_b32_e32 v24, v24, v41
	v_lshlrev_b32_e32 v26, v26, v56
	v_lshl_or_b32 v14, v14, 9, 0x7c00
	s_wait_alu 0xfffd
	v_cndmask_b32_e64 v8, 0, 1, vcc_lo
	v_cmp_ne_u32_e32 vcc_lo, v16, v34
	v_lshlrev_b32_e32 v28, v28, v58
	v_lshl_or_b32 v0, v0, 9, 0x7c00
	v_sub_nc_u32_e32 v31, 0x3f1, v33
	v_lshl_or_b32 v8, v8, 9, 0x7c00
	s_wait_alu 0xfffd
	v_cndmask_b32_e64 v16, 0, 1, vcc_lo
	v_cmp_ne_u32_e32 vcc_lo, v26, v32
	s_delay_alu instid0(VALU_DEP_2) | instskip(SKIP_3) | instid1(VALU_DEP_2)
	v_or_b32_e32 v16, v38, v16
	s_wait_alu 0xfffd
	v_cndmask_b32_e64 v26, 0, 1, vcc_lo
	v_cmp_ne_u32_e32 vcc_lo, v24, v29
	v_or_b32_e32 v26, v56, v26
	s_wait_alu 0xfffd
	v_cndmask_b32_e64 v24, 0, 1, vcc_lo
	v_cmp_ne_u32_e32 vcc_lo, v28, v39
	s_delay_alu instid0(VALU_DEP_2) | instskip(SKIP_3) | instid1(VALU_DEP_2)
	v_or_b32_e32 v24, v41, v24
	s_wait_alu 0xfffd
	v_cndmask_b32_e64 v28, 0, 1, vcc_lo
	v_cmp_gt_i32_e32 vcc_lo, 1, v23
	v_or_b32_e32 v28, v58, v28
	s_wait_alu 0xfffd
	v_cndmask_b32_e32 v16, v35, v16, vcc_lo
	v_cmp_gt_i32_e32 vcc_lo, 1, v27
	v_add_nc_u32_e32 v25, 0xfffffc10, v25
	s_wait_alu 0xfffd
	s_delay_alu instid0(VALU_DEP_3) | instskip(NEXT) | instid1(VALU_DEP_2)
	v_dual_cndmask_b32 v26, v37, v26 :: v_dual_and_b32 v29, 7, v16
	v_lshl_or_b32 v36, v25, 12, v4
	v_cmp_gt_i32_e32 vcc_lo, 1, v25
	v_lshrrev_b32_e32 v16, 2, v16
	s_delay_alu instid0(VALU_DEP_4)
	v_cmp_lt_i32_e64 s1, 5, v29
	v_and_b32_e32 v32, 7, v26
	v_lshrrev_b32_e32 v26, 2, v26
	s_wait_alu 0xfffd
	v_cndmask_b32_e32 v24, v36, v24, vcc_lo
	v_cmp_gt_i32_e32 vcc_lo, 1, v30
	v_cmp_eq_u32_e64 s2, 3, v29
	v_cmp_eq_u32_e64 s0, 3, v32
	s_wait_alu 0xfffd
	v_cndmask_b32_e32 v28, v40, v28, vcc_lo
	v_cmp_lt_i32_e32 vcc_lo, 5, v32
	s_delay_alu instid0(VALU_DEP_2)
	v_and_b32_e32 v29, 7, v28
	s_or_b32 vcc_lo, s0, vcc_lo
	v_cmp_gt_i32_e64 s0, 31, v27
	s_wait_alu 0xfffe
	v_add_co_ci_u32_e32 v26, vcc_lo, 0, v26, vcc_lo
	s_or_b32 vcc_lo, s2, s1
	v_cmp_gt_i32_e64 s1, 31, v23
	s_wait_alu 0xfffe
	v_add_co_ci_u32_e32 v16, vcc_lo, 0, v16, vcc_lo
	v_cmp_lt_i32_e32 vcc_lo, 5, v29
	v_cndmask_b32_e64 v26, 0x7c00, v26, s0
	v_cmp_eq_u32_e64 s0, 3, v29
	v_lshrrev_b32_e32 v28, 2, v28
	s_wait_alu 0xf1ff
	v_cndmask_b32_e64 v16, 0x7c00, v16, s1
	v_cmp_eq_u32_e64 s1, 0x40f, v27
	s_mul_u64 s[2:3], s[4:5], 0x6c
	s_or_b32 vcc_lo, s0, vcc_lo
	s_delay_alu instid0(VALU_DEP_1)
	v_cndmask_b32_e64 v14, v26, v14, s1
	s_wait_alu 0xfffe
	v_add_co_ci_u32_e32 v26, vcc_lo, 0, v28, vcc_lo
	v_cmp_eq_u32_e32 vcc_lo, 0x40f, v23
	v_cmp_eq_u32_e64 s1, 0x40f, v30
	v_and_or_b32 v14, 0x8000, v15, v14
	v_and_b32_e32 v15, 7, v24
	s_wait_alu 0xfffd
	v_cndmask_b32_e32 v0, v16, v0, vcc_lo
	v_cmp_gt_i32_e32 vcc_lo, 31, v30
	v_and_b32_e32 v14, 0xffff, v14
	v_cmp_eq_u32_e64 s0, 3, v15
	s_delay_alu instid0(VALU_DEP_4)
	v_and_or_b32 v0, 0x8000, v17, v0
	s_wait_alu 0xfffd
	v_cndmask_b32_e32 v16, 0x7c00, v26, vcc_lo
	v_cmp_lt_i32_e32 vcc_lo, 5, v15
	v_or_b32_e32 v15, 0x1000, v10
	v_lshl_or_b32 v0, v0, 16, v14
	v_lshrrev_b32_e32 v14, 2, v24
	s_or_b32 vcc_lo, s0, vcc_lo
	v_cndmask_b32_e64 v8, v16, v8, s1
	v_med3_i32 v16, v31, 0, 13
	s_wait_alu 0xfffe
	v_add_co_ci_u32_e32 v14, vcc_lo, 0, v14, vcc_lo
	v_cmp_ne_u32_e32 vcc_lo, 0, v4
	s_delay_alu instid0(VALU_DEP_3)
	v_lshrrev_b32_e32 v17, v16, v15
	v_and_or_b32 v23, 0x8000, v9, v8
	s_wait_alu 0xfffd
	v_cndmask_b32_e64 v4, 0, 1, vcc_lo
	v_cmp_gt_i32_e32 vcc_lo, 31, v25
	v_lshlrev_b32_e32 v8, v16, v17
	v_lshrrev_b32_e32 v16, 16, v5
	s_delay_alu instid0(VALU_DEP_4) | instskip(SKIP_4) | instid1(VALU_DEP_2)
	v_lshl_or_b32 v4, v4, 9, 0x7c00
	s_wait_alu 0xfffd
	v_cndmask_b32_e32 v14, 0x7c00, v14, vcc_lo
	v_cmp_eq_u32_e32 vcc_lo, 0x40f, v25
	s_wait_alu 0xfffd
	v_cndmask_b32_e32 v14, v14, v4, vcc_lo
	v_and_or_b32 v4, 0x1ff, v19, v18
	v_cmp_ne_u32_e32 vcc_lo, v8, v15
	v_lshrrev_b32_e32 v8, 8, v19
	v_bfe_u32 v15, v19, 20, 11
	v_add_nc_u32_e32 v18, 0xfffffc10, v33
	v_lshrrev_b32_e32 v19, 16, v19
	s_wait_alu 0xfffd
	v_cndmask_b32_e64 v5, 0, 1, vcc_lo
	v_cmp_ne_u32_e32 vcc_lo, 0, v4
	v_sub_nc_u32_e32 v24, 0x3f1, v15
	v_lshl_or_b32 v25, v18, 12, v10
	s_delay_alu instid0(VALU_DEP_4) | instskip(SKIP_3) | instid1(VALU_DEP_2)
	v_or_b32_e32 v17, v17, v5
	s_wait_alu 0xfffd
	v_cndmask_b32_e64 v4, 0, 1, vcc_lo
	v_cmp_gt_i32_e32 vcc_lo, 1, v18
	v_and_or_b32 v22, 0xffe, v8, v4
	v_mul_f64_e32 v[4:5], s[8:9], v[12:13]
	v_cvt_f64_f32_e32 v[8:9], v2
	v_med3_i32 v2, v24, 0, 13
	v_and_or_b32 v12, 0x8000, v16, v14
	v_or_b32_e32 v26, 0x1000, v22
	s_wait_alu 0xfffd
	v_dual_cndmask_b32 v14, v25, v17 :: v_dual_and_b32 v13, 0xffff, v23
	v_add_co_u32 v6, vcc_lo, v20, v6
	s_delay_alu instid0(VALU_DEP_3)
	v_lshrrev_b32_e32 v16, v2, v26
	s_wait_alu 0xfffd
	v_add_co_ci_u32_e32 v7, vcc_lo, v21, v7, vcc_lo
	v_and_b32_e32 v20, 7, v14
	v_lshl_or_b32 v17, v12, 16, v13
	v_add_co_u32 v12, vcc_lo, v6, s2
	v_lshlrev_b32_e32 v2, v2, v16
	s_wait_alu 0xfffd
	v_add_co_ci_u32_e32 v13, vcc_lo, s3, v7, vcc_lo
	v_cmp_lt_i32_e32 vcc_lo, 5, v20
	v_cmp_eq_u32_e64 s0, 3, v20
	v_lshrrev_b32_e32 v14, 2, v14
	v_cmp_ne_u32_e64 s1, v2, v26
	v_add_nc_u32_e32 v20, 0xfffffc10, v15
	v_lshrrev_b32_e32 v21, 16, v3
	s_or_b32 vcc_lo, s0, vcc_lo
	s_wait_alu 0xfffe
	v_add_co_ci_u32_e32 v14, vcc_lo, 0, v14, vcc_lo
	v_cndmask_b32_e64 v2, 0, 1, s1
	v_cmp_ne_u32_e32 vcc_lo, 0, v10
	v_lshl_or_b32 v15, v20, 12, v22
	s_delay_alu instid0(VALU_DEP_3)
	v_or_b32_e32 v2, v16, v2
	v_mul_f16_e32 v16, v55, v21
	s_wait_alu 0xfffd
	v_cndmask_b32_e64 v10, 0, 1, vcc_lo
	v_cmp_gt_i32_e32 vcc_lo, 1, v20
	v_and_or_b32 v4, 0x1ff, v5, v4
	v_mul_f64_e32 v[8:9], s[8:9], v[8:9]
	v_fmac_f16_e32 v16, v52, v3
	v_lshl_or_b32 v10, v10, 9, 0x7c00
	s_wait_alu 0xfffd
	v_cndmask_b32_e32 v2, v15, v2, vcc_lo
	v_cmp_gt_i32_e32 vcc_lo, 31, v18
	v_lshrrev_b32_e32 v24, 8, v5
	v_bfe_u32 v25, v5, 20, 11
	v_mul_f16_e32 v3, v55, v3
	s_wait_alu 0xfffd
	v_cndmask_b32_e32 v23, 0x7c00, v14, vcc_lo
	v_cvt_f32_f16_e32 v14, v16
	v_cmp_ne_u32_e32 vcc_lo, 0, v4
	v_and_b32_e32 v16, 7, v2
	v_lshrrev_b32_e32 v2, 2, v2
	v_fma_f16 v3, v52, v21, -v3
	v_cvt_f64_f32_e32 v[14:15], v14
	s_wait_alu 0xfffd
	v_cndmask_b32_e64 v4, 0, 1, vcc_lo
	v_cmp_eq_u32_e32 vcc_lo, 0x40f, v18
	v_cmp_eq_u32_e64 s0, 3, v16
	v_sub_nc_u32_e32 v18, 0x3f1, v25
	v_cvt_f32_f16_e32 v3, v3
	v_and_or_b32 v4, 0xffe, v24, v4
	s_wait_alu 0xfffd
	v_cndmask_b32_e32 v10, v23, v10, vcc_lo
	v_cmp_lt_i32_e32 vcc_lo, 5, v16
	v_med3_i32 v18, v18, 0, 13
	v_or_b32_e32 v16, 0x1000, v4
	s_delay_alu instid0(VALU_DEP_4)
	v_and_or_b32 v24, 0x8000, v11, v10
	s_or_b32 vcc_lo, s0, vcc_lo
	s_wait_alu 0xfffe
	v_add_co_ci_u32_e32 v2, vcc_lo, 0, v2, vcc_lo
	v_cmp_ne_u32_e32 vcc_lo, 0, v22
	v_lshrrev_b32_e32 v22, v18, v16
	s_wait_alu 0xfffd
	v_cndmask_b32_e64 v21, 0, 1, vcc_lo
	v_cmp_gt_i32_e32 vcc_lo, 31, v20
	s_delay_alu instid0(VALU_DEP_3) | instskip(SKIP_1) | instid1(VALU_DEP_4)
	v_lshlrev_b32_e32 v10, v18, v22
	v_and_or_b32 v8, 0x1ff, v9, v8
	v_lshl_or_b32 v21, v21, 9, 0x7c00
	s_wait_alu 0xfffd
	v_cndmask_b32_e32 v23, 0x7c00, v2, vcc_lo
	v_cmp_eq_u32_e32 vcc_lo, 0x40f, v20
	v_cvt_f64_f32_e32 v[2:3], v3
	v_add_nc_u32_e32 v20, 0xfffffc10, v25
	s_wait_alu 0xfffd
	v_cndmask_b32_e32 v18, v23, v21, vcc_lo
	v_cmp_ne_u32_e32 vcc_lo, v10, v16
	v_lshrrev_b32_e32 v21, 8, v9
	v_bfe_u32 v23, v9, 20, 11
	v_mul_f64_e32 v[10:11], s[8:9], v[14:15]
	v_and_or_b32 v18, 0x8000, v19, v18
	s_wait_alu 0xfffd
	v_cndmask_b32_e64 v16, 0, 1, vcc_lo
	v_cmp_ne_u32_e32 vcc_lo, 0, v8
	v_lshl_or_b32 v19, v20, 12, v4
	ds_load_2addr_b32 v[14:15], v49 offset0:135 offset1:162
	s_clause 0x1
	global_store_b32 v[6:7], v0, off
	global_store_b32 v[12:13], v17, off
	v_or_b32_e32 v16, v22, v16
	s_wait_alu 0xfffd
	v_cndmask_b32_e64 v8, 0, 1, vcc_lo
	v_cmp_gt_i32_e32 vcc_lo, 1, v20
	v_and_b32_e32 v22, 0xffff, v24
	v_lshrrev_b32_e32 v9, 16, v9
	s_delay_alu instid0(VALU_DEP_4)
	v_and_or_b32 v8, 0xffe, v21, v8
	v_sub_nc_u32_e32 v21, 0x3f1, v23
	s_wait_alu 0xfffd
	v_cndmask_b32_e32 v16, v19, v16, vcc_lo
	v_lshl_or_b32 v0, v18, 16, v22
	v_add_co_u32 v6, vcc_lo, v12, s2
	v_or_b32_e32 v19, 0x1000, v8
	v_med3_i32 v21, v21, 0, 13
	v_and_b32_e32 v17, 7, v16
	s_wait_alu 0xfffd
	v_add_co_ci_u32_e32 v7, vcc_lo, s3, v13, vcc_lo
	v_lshrrev_b32_e32 v16, 2, v16
	v_lshrrev_b32_e32 v18, v21, v19
	v_cmp_lt_i32_e32 vcc_lo, 5, v17
	v_cmp_eq_u32_e64 s0, 3, v17
	v_add_nc_u32_e32 v17, 0xfffffc10, v23
	s_wait_dscnt 0x0
	v_lshrrev_b32_e32 v22, 16, v14
	v_lshlrev_b32_e32 v12, v21, v18
	v_mul_f64_e32 v[2:3], s[8:9], v[2:3]
	s_or_b32 vcc_lo, s0, vcc_lo
	global_store_b32 v[6:7], v0, off
	s_wait_alu 0xfffe
	v_add_co_ci_u32_e32 v16, vcc_lo, 0, v16, vcc_lo
	v_cmp_ne_u32_e64 s1, v12, v19
	v_cmp_ne_u32_e32 vcc_lo, 0, v4
	v_lshl_or_b32 v19, v17, 12, v8
	v_and_or_b32 v10, 0x1ff, v11, v10
	v_mul_f16_e32 v13, v53, v22
	s_wait_alu 0xf1ff
	v_cndmask_b32_e64 v12, 0, 1, s1
	s_wait_alu 0xfffd
	v_cndmask_b32_e64 v4, 0, 1, vcc_lo
	v_cmp_gt_i32_e32 vcc_lo, 1, v17
	v_bfe_u32 v21, v11, 20, 11
	v_fmac_f16_e32 v13, v50, v14
	v_or_b32_e32 v18, v18, v12
	v_lshl_or_b32 v4, v4, 9, 0x7c00
	v_mul_f16_e32 v14, v53, v14
	s_delay_alu instid0(VALU_DEP_4)
	v_cvt_f32_f16_e32 v12, v13
	s_wait_alu 0xfffd
	v_cndmask_b32_e32 v18, v19, v18, vcc_lo
	v_cmp_ne_u32_e32 vcc_lo, 0, v10
	v_lshrrev_b32_e32 v19, 8, v11
	v_fma_f16 v14, v50, v22, -v14
	v_cvt_f64_f32_e32 v[12:13], v12
	v_and_b32_e32 v23, 7, v18
	s_wait_alu 0xfffd
	v_cndmask_b32_e64 v10, 0, 1, vcc_lo
	v_cmp_gt_i32_e32 vcc_lo, 31, v20
	v_cvt_f32_f16_e32 v14, v14
	v_lshrrev_b32_e32 v11, 16, v11
	v_cmp_eq_u32_e64 s0, 3, v23
	v_and_or_b32 v10, 0xffe, v19, v10
	v_sub_nc_u32_e32 v19, 0x3f1, v21
	v_add_nc_u32_e32 v21, 0xfffffc10, v21
	s_delay_alu instid0(VALU_DEP_2)
	v_med3_i32 v19, v19, 0, 13
	s_wait_alu 0xfffd
	v_cndmask_b32_e32 v16, 0x7c00, v16, vcc_lo
	v_cmp_eq_u32_e32 vcc_lo, 0x40f, v20
	v_lshrrev_b32_e32 v20, 16, v5
	v_lshrrev_b32_e32 v5, 2, v18
	v_and_or_b32 v2, 0x1ff, v3, v2
	v_bfe_u32 v22, v3, 20, 11
	s_wait_alu 0xfffd
	v_cndmask_b32_e32 v16, v16, v4, vcc_lo
	v_or_b32_e32 v4, 0x1000, v10
	v_cmp_lt_i32_e32 vcc_lo, 5, v23
	s_delay_alu instid0(VALU_DEP_2) | instskip(SKIP_3) | instid1(VALU_DEP_2)
	v_lshrrev_b32_e32 v18, v19, v4
	s_or_b32 vcc_lo, s0, vcc_lo
	s_wait_alu 0xfffe
	v_add_co_ci_u32_e32 v23, vcc_lo, 0, v5, vcc_lo
	v_lshlrev_b32_e32 v5, v19, v18
	v_cmp_ne_u32_e32 vcc_lo, 0, v2
	v_lshrrev_b32_e32 v19, 8, v3
	s_wait_alu 0xfffd
	v_cndmask_b32_e64 v2, 0, 1, vcc_lo
	v_cmp_ne_u32_e32 vcc_lo, v5, v4
	v_mul_f64_e32 v[4:5], s[8:9], v[12:13]
	v_cvt_f64_f32_e32 v[12:13], v14
	s_delay_alu instid0(VALU_DEP_4) | instskip(SKIP_4) | instid1(VALU_DEP_3)
	v_and_or_b32 v2, 0xffe, v19, v2
	s_wait_alu 0xfffd
	v_cndmask_b32_e64 v24, 0, 1, vcc_lo
	v_cmp_ne_u32_e32 vcc_lo, 0, v8
	v_sub_nc_u32_e32 v19, 0x3f1, v22
	v_or_b32_e32 v14, v18, v24
	s_wait_alu 0xfffd
	v_cndmask_b32_e64 v8, 0, 1, vcc_lo
	v_cmp_gt_i32_e32 vcc_lo, 31, v17
	v_lshl_or_b32 v18, v21, 12, v10
	v_or_b32_e32 v24, 0x1000, v2
	v_med3_i32 v19, v19, 0, 13
	v_lshl_or_b32 v8, v8, 9, 0x7c00
	s_wait_alu 0xfffd
	v_cndmask_b32_e32 v23, 0x7c00, v23, vcc_lo
	v_cmp_gt_i32_e32 vcc_lo, 1, v21
	s_wait_alu 0xfffd
	v_cndmask_b32_e32 v14, v18, v14, vcc_lo
	v_lshrrev_b32_e32 v18, v19, v24
	v_cmp_eq_u32_e32 vcc_lo, 0x40f, v17
	s_delay_alu instid0(VALU_DEP_3) | instskip(NEXT) | instid1(VALU_DEP_3)
	v_and_b32_e32 v17, 7, v14
	v_lshlrev_b32_e32 v19, v19, v18
	s_wait_alu 0xfffd
	v_cndmask_b32_e32 v8, v23, v8, vcc_lo
	v_and_or_b32 v0, 0x8000, v20, v16
	v_cmp_lt_i32_e32 vcc_lo, 5, v17
	v_cmp_ne_u32_e64 s0, v19, v24
	s_delay_alu instid0(VALU_DEP_4)
	v_and_or_b32 v16, 0x8000, v9, v8
	v_lshrrev_b32_e32 v9, 2, v14
	v_add_nc_u32_e32 v19, 0xfffffc10, v22
	v_and_b32_e32 v0, 0xffff, v0
	s_wait_alu 0xf1ff
	v_cndmask_b32_e64 v8, 0, 1, s0
	v_cmp_eq_u32_e64 s0, 3, v17
	v_and_or_b32 v4, 0x1ff, v5, v4
	v_lshl_or_b32 v14, v19, 12, v2
	v_lshrrev_b32_e32 v20, 8, v5
	v_or_b32_e32 v8, v18, v8
	s_or_b32 vcc_lo, s0, vcc_lo
	v_lshrrev_b32_e32 v18, 16, v15
	s_wait_alu 0xfffe
	v_add_co_ci_u32_e32 v17, vcc_lo, 0, v9, vcc_lo
	v_cmp_ne_u32_e32 vcc_lo, 0, v10
	v_bfe_u32 v22, v5, 20, 11
	v_lshl_or_b32 v0, v16, 16, v0
	v_lshrrev_b32_e32 v5, 16, v5
	s_wait_alu 0xfffd
	v_cndmask_b32_e64 v10, 0, 1, vcc_lo
	v_cmp_gt_i32_e32 vcc_lo, 1, v19
	s_delay_alu instid0(VALU_DEP_2)
	v_lshl_or_b32 v10, v10, 9, 0x7c00
	s_wait_alu 0xfffd
	v_cndmask_b32_e32 v14, v14, v8, vcc_lo
	v_cmp_gt_i32_e32 vcc_lo, 31, v21
	v_mul_f64_e32 v[8:9], s[8:9], v[12:13]
	v_mul_f16_e32 v13, v51, v18
	s_wait_alu 0xfffd
	v_cndmask_b32_e32 v12, 0x7c00, v17, vcc_lo
	v_cmp_ne_u32_e32 vcc_lo, 0, v4
	v_and_b32_e32 v17, 7, v14
	v_fmac_f16_e32 v13, v47, v15
	v_lshrrev_b32_e32 v14, 2, v14
	s_wait_alu 0xfffd
	v_cndmask_b32_e64 v4, 0, 1, vcc_lo
	v_cmp_eq_u32_e32 vcc_lo, 0x40f, v21
	v_cmp_eq_u32_e64 s0, 3, v17
	s_delay_alu instid0(VALU_DEP_3)
	v_and_or_b32 v4, 0xffe, v20, v4
	s_wait_alu 0xfffd
	v_cndmask_b32_e32 v10, v12, v10, vcc_lo
	v_cvt_f32_f16_e32 v12, v13
	v_cmp_lt_i32_e32 vcc_lo, 5, v17
	v_sub_nc_u32_e32 v20, 0x3f1, v22
	v_or_b32_e32 v17, 0x1000, v4
	v_and_or_b32 v23, 0x8000, v11, v10
	v_cvt_f64_f32_e32 v[12:13], v12
	s_or_b32 vcc_lo, s0, vcc_lo
	v_med3_i32 v20, v20, 0, 13
	s_wait_alu 0xfffe
	v_add_co_ci_u32_e32 v14, vcc_lo, 0, v14, vcc_lo
	v_cmp_ne_u32_e32 vcc_lo, 0, v2
	v_mul_f16_e32 v10, v51, v15
	v_lshrrev_b32_e32 v21, v20, v17
	v_lshrrev_b32_e32 v15, 16, v3
	s_wait_alu 0xfffd
	v_cndmask_b32_e64 v2, 0, 1, vcc_lo
	v_cmp_gt_i32_e32 vcc_lo, 31, v19
	v_lshlrev_b32_e32 v11, v20, v21
	s_delay_alu instid0(VALU_DEP_3)
	v_lshl_or_b32 v2, v2, 9, 0x7c00
	s_wait_alu 0xfffd
	v_cndmask_b32_e32 v14, 0x7c00, v14, vcc_lo
	v_cmp_eq_u32_e32 vcc_lo, 0x40f, v19
	v_and_or_b32 v3, 0x1ff, v9, v8
	s_wait_alu 0xfffd
	s_delay_alu instid0(VALU_DEP_3)
	v_cndmask_b32_e32 v14, v14, v2, vcc_lo
	v_fma_f16 v2, v47, v18, -v10
	v_cmp_ne_u32_e32 vcc_lo, v11, v17
	v_add_nc_u32_e32 v18, 0xfffffc10, v22
	v_lshrrev_b32_e32 v11, 8, v9
	v_bfe_u32 v17, v9, 20, 11
	v_cvt_f32_f16_e32 v2, v2
	s_wait_alu 0xfffd
	v_cndmask_b32_e64 v8, 0, 1, vcc_lo
	v_cmp_ne_u32_e32 vcc_lo, 0, v3
	v_lshl_or_b32 v19, v18, 12, v4
	v_and_or_b32 v14, 0x8000, v15, v14
	v_cvt_f64_f32_e32 v[2:3], v2
	v_or_b32_e32 v8, v21, v8
	s_wait_alu 0xfffd
	v_cndmask_b32_e64 v10, 0, 1, vcc_lo
	v_sub_nc_u32_e32 v21, 0x3f1, v17
	v_cmp_gt_i32_e32 vcc_lo, 1, v18
	v_mul_f64_e32 v[12:13], s[8:9], v[12:13]
	v_and_b32_e32 v15, 0xffff, v23
	v_and_or_b32 v20, 0xffe, v11, v10
	ds_load_2addr_b32 v[10:11], v49 offset0:189 offset1:216
	s_wait_alu 0xfffd
	v_cndmask_b32_e32 v8, v19, v8, vcc_lo
	v_med3_i32 v21, v21, 0, 13
	v_add_co_u32 v6, vcc_lo, v6, s2
	v_or_b32_e32 v19, 0x1000, v20
	s_delay_alu instid0(VALU_DEP_4)
	v_and_b32_e32 v16, 7, v8
	v_lshl_or_b32 v23, v14, 16, v15
	s_wait_alu 0xfffd
	v_add_co_ci_u32_e32 v7, vcc_lo, s3, v7, vcc_lo
	v_lshrrev_b32_e32 v22, v21, v19
	v_cmp_lt_i32_e32 vcc_lo, 5, v16
	v_cmp_eq_u32_e64 s0, 3, v16
	v_lshrrev_b32_e32 v8, 2, v8
	s_delay_alu instid0(VALU_DEP_4) | instskip(NEXT) | instid1(VALU_DEP_3)
	v_lshlrev_b32_e32 v14, v21, v22
	s_or_b32 vcc_lo, s0, vcc_lo
	s_wait_alu 0xfffe
	s_delay_alu instid0(VALU_DEP_2)
	v_add_co_ci_u32_e32 v8, vcc_lo, 0, v8, vcc_lo
	s_wait_dscnt 0x0
	v_lshrrev_b32_e32 v21, 16, v10
	v_cmp_ne_u32_e64 s1, v14, v19
	v_add_nc_u32_e32 v19, 0xfffffc10, v17
	v_cmp_ne_u32_e32 vcc_lo, 0, v4
	s_delay_alu instid0(VALU_DEP_4)
	v_mul_f16_e32 v15, v48, v21
	s_wait_alu 0xf1ff
	v_cndmask_b32_e64 v14, 0, 1, s1
	v_lshl_or_b32 v16, v19, 12, v20
	s_wait_alu 0xfffd
	v_cndmask_b32_e64 v4, 0, 1, vcc_lo
	v_mul_f64_e32 v[2:3], s[8:9], v[2:3]
	v_fmac_f16_e32 v15, v46, v10
	v_or_b32_e32 v14, v22, v14
	v_cmp_gt_i32_e32 vcc_lo, 1, v19
	v_lshl_or_b32 v4, v4, 9, 0x7c00
	v_and_or_b32 v12, 0x1ff, v13, v12
	s_wait_alu 0xfffd
	v_cndmask_b32_e32 v22, v16, v14, vcc_lo
	v_cvt_f32_f16_e32 v14, v15
	v_cmp_gt_i32_e32 vcc_lo, 31, v18
	v_cmp_ne_u32_e64 s0, 0, v12
	v_lshrrev_b32_e32 v12, 8, v13
	v_and_b32_e32 v24, 7, v22
	v_cvt_f64_f32_e32 v[14:15], v14
	s_wait_alu 0xfffd
	v_cndmask_b32_e32 v8, 0x7c00, v8, vcc_lo
	v_add_co_u32 v16, vcc_lo, v6, s2
	s_wait_alu 0xfffd
	v_add_co_ci_u32_e32 v17, vcc_lo, s3, v7, vcc_lo
	v_cmp_eq_u32_e32 vcc_lo, 0x40f, v18
	v_lshrrev_b32_e32 v22, 2, v22
	v_bfe_u32 v18, v13, 20, 11
	s_clause 0x1
	global_store_b32 v[6:7], v0, off
	global_store_b32 v[16:17], v23, off
	v_lshrrev_b32_e32 v13, 16, v13
	s_wait_alu 0xfffd
	v_cndmask_b32_e32 v4, v8, v4, vcc_lo
	v_cmp_lt_i32_e32 vcc_lo, 5, v24
	s_wait_alu 0xf1ff
	v_cndmask_b32_e64 v8, 0, 1, s0
	v_cmp_eq_u32_e64 s0, 3, v24
	v_and_or_b32 v25, 0x8000, v5, v4
	s_delay_alu instid0(VALU_DEP_3) | instskip(NEXT) | instid1(VALU_DEP_3)
	v_and_or_b32 v12, 0xffe, v12, v8
	s_or_b32 vcc_lo, s0, vcc_lo
	v_sub_nc_u32_e32 v8, 0x3f1, v18
	s_wait_alu 0xfffe
	v_add_co_ci_u32_e32 v22, vcc_lo, 0, v22, vcc_lo
	v_cmp_ne_u32_e32 vcc_lo, 0, v20
	v_or_b32_e32 v24, 0x1000, v12
	v_med3_i32 v8, v8, 0, 13
	v_and_or_b32 v2, 0x1ff, v3, v2
	v_add_nc_u32_e32 v18, 0xfffffc10, v18
	s_wait_alu 0xfffd
	v_cndmask_b32_e64 v20, 0, 1, vcc_lo
	v_cmp_gt_i32_e32 vcc_lo, 31, v19
	v_lshrrev_b32_e32 v26, v8, v24
	v_cmp_eq_u32_e64 s1, 0x40f, v18
	s_delay_alu instid0(VALU_DEP_4)
	v_lshl_or_b32 v20, v20, 9, 0x7c00
	s_wait_alu 0xfffd
	v_cndmask_b32_e32 v22, 0x7c00, v22, vcc_lo
	v_cmp_eq_u32_e32 vcc_lo, 0x40f, v19
	v_lshlrev_b32_e32 v8, v8, v26
	v_mul_f64_e32 v[4:5], s[8:9], v[14:15]
	v_lshl_or_b32 v15, v18, 12, v12
	s_wait_alu 0xfffd
	v_cndmask_b32_e32 v19, v22, v20, vcc_lo
	v_cmp_ne_u32_e32 vcc_lo, 0, v2
	v_lshrrev_b32_e32 v20, 16, v9
	v_mul_f16_e32 v9, v48, v10
	v_lshrrev_b32_e32 v10, 8, v3
	v_bfe_u32 v22, v3, 20, 11
	s_wait_alu 0xfffd
	v_cndmask_b32_e64 v2, 0, 1, vcc_lo
	v_cmp_ne_u32_e32 vcc_lo, v8, v24
	v_fma_f16 v9, v46, v21, -v9
	v_and_or_b32 v19, 0x8000, v20, v19
	v_and_b32_e32 v20, 0xffff, v25
	v_and_or_b32 v2, 0xffe, v10, v2
	s_wait_alu 0xfffd
	v_cndmask_b32_e64 v8, 0, 1, vcc_lo
	v_sub_nc_u32_e32 v10, 0x3f1, v22
	v_cvt_f32_f16_e32 v9, v9
	v_cmp_gt_i32_e32 vcc_lo, 1, v18
	v_or_b32_e32 v21, 0x1000, v2
	v_or_b32_e32 v14, v26, v8
	v_med3_i32 v10, v10, 0, 13
	v_cvt_f64_f32_e32 v[8:9], v9
	v_lshl_or_b32 v19, v19, 16, v20
	v_lshrrev_b32_e32 v3, 16, v3
	s_wait_alu 0xfffd
	v_cndmask_b32_e32 v14, v15, v14, vcc_lo
	v_lshrrev_b32_e32 v15, v10, v21
	v_add_co_u32 v6, vcc_lo, v16, s2
	v_lshrrev_b32_e32 v16, 16, v11
	s_delay_alu instid0(VALU_DEP_4) | instskip(NEXT) | instid1(VALU_DEP_4)
	v_and_b32_e32 v0, 7, v14
	v_lshlrev_b32_e32 v10, v10, v15
	s_wait_alu 0xfffd
	v_add_co_ci_u32_e32 v7, vcc_lo, s3, v17, vcc_lo
	v_add_nc_u32_e32 v17, 0xfffffc10, v22
	v_cmp_lt_i32_e32 vcc_lo, 5, v0
	v_cmp_ne_u32_e64 s0, v10, v21
	v_mul_f16_e32 v20, v45, v16
	v_and_or_b32 v4, 0x1ff, v5, v4
	v_bfe_u32 v21, v5, 20, 11
	s_wait_alu 0xf1ff
	v_cndmask_b32_e64 v10, 0, 1, s0
	v_cmp_eq_u32_e64 s0, 3, v0
	v_lshrrev_b32_e32 v0, 2, v14
	v_lshl_or_b32 v14, v17, 12, v2
	v_fmac_f16_e32 v20, v44, v11
	v_or_b32_e32 v10, v15, v10
	s_or_b32 vcc_lo, s0, vcc_lo
	s_wait_alu 0xfffe
	v_add_co_ci_u32_e32 v0, vcc_lo, 0, v0, vcc_lo
	v_cmp_gt_i32_e32 vcc_lo, 1, v17
	v_cvt_f32_f16_e32 v15, v20
	v_lshrrev_b32_e32 v20, 8, v5
	s_wait_alu 0xfffd
	v_cndmask_b32_e32 v10, v14, v10, vcc_lo
	v_cmp_ne_u32_e32 vcc_lo, 0, v4
	v_cvt_f64_f32_e32 v[14:15], v15
	v_mul_f64_e32 v[8:9], s[8:9], v[8:9]
	s_delay_alu instid0(VALU_DEP_4)
	v_and_b32_e32 v22, 7, v10
	s_wait_alu 0xfffd
	v_cndmask_b32_e64 v4, 0, 1, vcc_lo
	v_cmp_ne_u32_e32 vcc_lo, 0, v12
	v_lshrrev_b32_e32 v10, 2, v10
	v_cmp_eq_u32_e64 s0, 3, v22
	s_delay_alu instid0(VALU_DEP_4)
	v_and_or_b32 v4, 0xffe, v20, v4
	s_wait_alu 0xfffd
	v_cndmask_b32_e64 v12, 0, 1, vcc_lo
	v_cmp_gt_i32_e32 vcc_lo, 31, v18
	v_sub_nc_u32_e32 v20, 0x3f1, v21
	v_or_b32_e32 v23, 0x1000, v4
	s_delay_alu instid0(VALU_DEP_4) | instskip(SKIP_4) | instid1(VALU_DEP_3)
	v_lshl_or_b32 v12, v12, 9, 0x7c00
	s_wait_alu 0xfffd
	v_cndmask_b32_e32 v0, 0x7c00, v0, vcc_lo
	v_cmp_lt_i32_e32 vcc_lo, 5, v22
	v_med3_i32 v20, v20, 0, 13
	v_cndmask_b32_e64 v0, v0, v12, s1
	s_or_b32 vcc_lo, s0, vcc_lo
	s_delay_alu instid0(VALU_DEP_2)
	v_lshrrev_b32_e32 v12, v20, v23
	s_wait_alu 0xfffe
	v_add_co_ci_u32_e32 v10, vcc_lo, 0, v10, vcc_lo
	v_cmp_ne_u32_e32 vcc_lo, 0, v2
	v_and_or_b32 v0, 0x8000, v13, v0
	v_lshlrev_b32_e32 v18, v20, v12
	v_add_nc_u32_e32 v20, 0xfffffc10, v21
	v_mul_f16_e32 v13, v45, v11
	s_wait_alu 0xfffd
	v_cndmask_b32_e64 v2, 0, 1, vcc_lo
	v_cmp_gt_i32_e32 vcc_lo, 31, v17
	v_and_b32_e32 v0, 0xffff, v0
	v_fma_f16 v13, v44, v16, -v13
	s_delay_alu instid0(VALU_DEP_4)
	v_lshl_or_b32 v2, v2, 9, 0x7c00
	s_wait_alu 0xfffd
	v_cndmask_b32_e32 v10, 0x7c00, v10, vcc_lo
	v_cmp_ne_u32_e32 vcc_lo, v18, v23
	v_and_or_b32 v8, 0x1ff, v9, v8
	v_cvt_f32_f16_e32 v13, v13
	s_wait_alu 0xfffd
	v_cndmask_b32_e64 v18, 0, 1, vcc_lo
	v_cmp_eq_u32_e32 vcc_lo, 0x40f, v17
	s_delay_alu instid0(VALU_DEP_2)
	v_or_b32_e32 v12, v12, v18
	s_wait_alu 0xfffd
	v_cndmask_b32_e32 v2, v10, v2, vcc_lo
	v_mul_f64_e32 v[10:11], s[8:9], v[14:15]
	v_lshl_or_b32 v14, v20, 12, v4
	v_cmp_gt_i32_e32 vcc_lo, 1, v20
	v_bfe_u32 v15, v9, 20, 11
	v_and_or_b32 v16, 0x8000, v3, v2
	v_cvt_f64_f32_e32 v[2:3], v13
	s_wait_alu 0xfffd
	v_cndmask_b32_e32 v12, v14, v12, vcc_lo
	v_cmp_ne_u32_e32 vcc_lo, 0, v8
	v_lshrrev_b32_e32 v14, 8, v9
	v_sub_nc_u32_e32 v13, 0x3f1, v15
	v_lshl_or_b32 v16, v16, 16, v0
	v_and_b32_e32 v17, 7, v12
	s_wait_alu 0xfffd
	v_cndmask_b32_e64 v8, 0, 1, vcc_lo
	v_lshrrev_b32_e32 v0, 2, v12
	v_med3_i32 v13, v13, 0, 13
	v_add_nc_u32_e32 v15, 0xfffffc10, v15
	v_cmp_lt_i32_e32 vcc_lo, 5, v17
	v_and_or_b32 v8, 0xffe, v14, v8
	v_lshrrev_b32_e32 v14, 16, v1
	v_cmp_eq_u32_e64 s0, 3, v17
	v_lshrrev_b32_e32 v9, 16, v9
	s_delay_alu instid0(VALU_DEP_4) | instskip(NEXT) | instid1(VALU_DEP_4)
	v_or_b32_e32 v18, 0x1000, v8
	v_mul_f16_e32 v21, v43, v14
	s_delay_alu instid0(VALU_DEP_4)
	s_or_b32 vcc_lo, s0, vcc_lo
	s_wait_alu 0xfffe
	v_add_co_ci_u32_e32 v0, vcc_lo, 0, v0, vcc_lo
	v_lshrrev_b32_e32 v17, v13, v18
	v_cmp_ne_u32_e32 vcc_lo, 0, v4
	v_fmac_f16_e32 v21, v42, v1
	v_mul_f16_e32 v1, v43, v1
	s_delay_alu instid0(VALU_DEP_4)
	v_lshlrev_b32_e32 v22, v13, v17
	s_wait_alu 0xfffd
	v_cndmask_b32_e64 v4, 0, 1, vcc_lo
	v_cmp_gt_i32_e32 vcc_lo, 31, v20
	v_cvt_f32_f16_e32 v12, v21
	v_fma_f16 v14, v42, v14, -v1
	s_delay_alu instid0(VALU_DEP_4)
	v_lshl_or_b32 v4, v4, 9, 0x7c00
	s_wait_alu 0xfffd
	v_cndmask_b32_e32 v21, 0x7c00, v0, vcc_lo
	v_and_or_b32 v0, 0x1ff, v11, v10
	v_cmp_ne_u32_e32 vcc_lo, v22, v18
	v_cvt_f64_f32_e32 v[12:13], v12
	v_lshrrev_b32_e32 v18, 8, v11
	v_lshl_or_b32 v22, v15, 12, v8
	s_wait_alu 0xfffd
	v_cndmask_b32_e64 v10, 0, 1, vcc_lo
	v_cmp_ne_u32_e32 vcc_lo, 0, v0
	s_delay_alu instid0(VALU_DEP_2)
	v_or_b32_e32 v10, v17, v10
	s_wait_alu 0xfffd
	v_cndmask_b32_e64 v0, 0, 1, vcc_lo
	v_bfe_u32 v17, v11, 20, 11
	v_cmp_gt_i32_e32 vcc_lo, 1, v15
	v_lshrrev_b32_e32 v11, 16, v11
	s_delay_alu instid0(VALU_DEP_4)
	v_and_or_b32 v18, 0xffe, v18, v0
	v_mul_f64_e32 v[0:1], s[8:9], v[2:3]
	v_sub_nc_u32_e32 v2, 0x3f1, v17
	s_wait_alu 0xfffd
	v_cndmask_b32_e32 v10, v22, v10, vcc_lo
	v_cvt_f32_f16_e32 v3, v14
	v_cmp_eq_u32_e32 vcc_lo, 0x40f, v20
	v_or_b32_e32 v14, 0x1000, v18
	v_med3_i32 v22, v2, 0, 13
	v_and_b32_e32 v23, 7, v10
	v_cvt_f64_f32_e32 v[2:3], v3
	s_wait_alu 0xfffd
	v_cndmask_b32_e32 v20, v21, v4, vcc_lo
	v_add_co_u32 v4, vcc_lo, v6, s2
	v_lshrrev_b32_e32 v24, v22, v14
	v_lshrrev_b32_e32 v21, 16, v5
	s_wait_alu 0xfffd
	v_add_co_ci_u32_e32 v5, vcc_lo, s3, v7, vcc_lo
	v_cmp_lt_i32_e32 vcc_lo, 5, v23
	v_cmp_eq_u32_e64 s0, 3, v23
	v_lshrrev_b32_e32 v10, 2, v10
	v_lshlrev_b32_e32 v22, v22, v24
	v_add_nc_u32_e32 v17, 0xfffffc10, v17
	v_and_or_b32 v20, 0x8000, v21, v20
	s_or_b32 vcc_lo, s0, vcc_lo
	v_mul_f64_e32 v[12:13], s[8:9], v[12:13]
	s_wait_alu 0xfffe
	v_add_co_ci_u32_e32 v10, vcc_lo, 0, v10, vcc_lo
	v_cmp_ne_u32_e64 s1, v22, v14
	v_cmp_ne_u32_e32 vcc_lo, 0, v8
	v_lshl_or_b32 v21, v17, 12, v18
	s_wait_alu 0xf1ff
	s_delay_alu instid0(VALU_DEP_3) | instskip(SKIP_3) | instid1(VALU_DEP_3)
	v_cndmask_b32_e64 v14, 0, 1, s1
	s_wait_alu 0xfffd
	v_cndmask_b32_e64 v8, 0, 1, vcc_lo
	v_cmp_gt_i32_e32 vcc_lo, 31, v15
	v_or_b32_e32 v14, v24, v14
	s_delay_alu instid0(VALU_DEP_3)
	v_lshl_or_b32 v8, v8, 9, 0x7c00
	s_wait_alu 0xfffd
	v_cndmask_b32_e32 v10, 0x7c00, v10, vcc_lo
	v_cmp_gt_i32_e32 vcc_lo, 1, v17
	v_and_or_b32 v0, 0x1ff, v1, v0
	s_wait_alu 0xfffd
	v_cndmask_b32_e32 v14, v21, v14, vcc_lo
	v_cmp_eq_u32_e32 vcc_lo, 0x40f, v15
	v_lshrrev_b32_e32 v15, 8, v1
	v_mul_f64_e32 v[2:3], s[8:9], v[2:3]
	v_bfe_u32 v21, v1, 20, 11
	v_lshrrev_b32_e32 v1, 16, v1
	s_wait_alu 0xfffd
	v_cndmask_b32_e32 v8, v10, v8, vcc_lo
	v_cmp_ne_u32_e32 vcc_lo, 0, v0
	v_and_b32_e32 v10, 7, v14
	s_delay_alu instid0(VALU_DEP_3)
	v_and_or_b32 v8, 0x8000, v9, v8
	v_and_b32_e32 v9, 0xffff, v20
	s_wait_alu 0xfffd
	v_cndmask_b32_e64 v0, 0, 1, vcc_lo
	v_cmp_lt_i32_e32 vcc_lo, 5, v10
	v_cmp_eq_u32_e64 s0, 3, v10
	v_lshl_or_b32 v10, v8, 16, v9
	v_lshrrev_b32_e32 v8, 2, v14
	v_and_or_b32 v0, 0xffe, v15, v0
	v_sub_nc_u32_e32 v15, 0x3f1, v21
	s_or_b32 vcc_lo, s0, vcc_lo
	v_and_or_b32 v12, 0x1ff, v13, v12
	s_wait_alu 0xfffe
	v_add_co_ci_u32_e32 v8, vcc_lo, 0, v8, vcc_lo
	v_or_b32_e32 v9, 0x1000, v0
	v_med3_i32 v14, v15, 0, 13
	v_cmp_ne_u32_e32 vcc_lo, 0, v18
	v_lshrrev_b32_e32 v20, 8, v13
	v_bfe_u32 v22, v13, 20, 11
	s_delay_alu instid0(VALU_DEP_4) | instskip(SKIP_3) | instid1(VALU_DEP_3)
	v_lshrrev_b32_e32 v18, v14, v9
	s_wait_alu 0xfffd
	v_cndmask_b32_e64 v15, 0, 1, vcc_lo
	v_cmp_gt_i32_e32 vcc_lo, 31, v17
	v_lshlrev_b32_e32 v14, v14, v18
	s_delay_alu instid0(VALU_DEP_3)
	v_lshl_or_b32 v15, v15, 9, 0x7c00
	s_wait_alu 0xfffd
	v_cndmask_b32_e32 v8, 0x7c00, v8, vcc_lo
	v_cmp_ne_u32_e32 vcc_lo, 0, v12
	v_and_or_b32 v2, 0x1ff, v3, v2
	s_wait_alu 0xfffd
	v_cndmask_b32_e64 v12, 0, 1, vcc_lo
	v_cmp_ne_u32_e32 vcc_lo, v14, v9
	v_add_nc_u32_e32 v14, 0xfffffc10, v21
	v_bfe_u32 v21, v3, 20, 11
	s_delay_alu instid0(VALU_DEP_4)
	v_and_or_b32 v12, 0xffe, v20, v12
	s_wait_alu 0xfffd
	v_cndmask_b32_e64 v9, 0, 1, vcc_lo
	v_sub_nc_u32_e32 v20, 0x3f1, v22
	v_cmp_eq_u32_e32 vcc_lo, 0x40f, v17
	v_or_b32_e32 v17, 0x1000, v12
	s_delay_alu instid0(VALU_DEP_4) | instskip(NEXT) | instid1(VALU_DEP_4)
	v_or_b32_e32 v9, v18, v9
	v_med3_i32 v18, v20, 0, 13
	s_wait_alu 0xfffd
	v_cndmask_b32_e32 v8, v8, v15, vcc_lo
	v_lshl_or_b32 v15, v14, 12, v0
	v_cmp_gt_i32_e32 vcc_lo, 1, v14
	v_lshrrev_b32_e32 v20, 8, v3
	v_lshrrev_b32_e32 v3, 16, v3
	v_and_or_b32 v8, 0x8000, v11, v8
	v_sub_nc_u32_e32 v11, 0x3f1, v21
	s_wait_alu 0xfffd
	v_cndmask_b32_e32 v9, v15, v9, vcc_lo
	v_lshrrev_b32_e32 v15, v18, v17
	v_cmp_ne_u32_e32 vcc_lo, 0, v2
	v_and_b32_e32 v8, 0xffff, v8
	v_med3_i32 v11, v11, 0, 13
	v_and_b32_e32 v23, 7, v9
	v_lshlrev_b32_e32 v18, v18, v15
	s_wait_alu 0xfffd
	v_cndmask_b32_e64 v2, 0, 1, vcc_lo
	v_lshrrev_b32_e32 v9, 2, v9
	v_cmp_lt_i32_e32 vcc_lo, 5, v23
	v_cmp_ne_u32_e64 s0, v18, v17
	s_delay_alu instid0(VALU_DEP_4) | instskip(SKIP_2) | instid1(VALU_DEP_3)
	v_and_or_b32 v2, 0xffe, v20, v2
	v_add_nc_u32_e32 v20, 0xfffffc10, v22
	s_wait_alu 0xf1ff
	v_cndmask_b32_e64 v17, 0, 1, s0
	v_cmp_eq_u32_e64 s0, 3, v23
	v_or_b32_e32 v18, 0x1000, v2
	v_lshl_or_b32 v22, v20, 12, v12
	s_delay_alu instid0(VALU_DEP_4) | instskip(NEXT) | instid1(VALU_DEP_4)
	v_or_b32_e32 v15, v15, v17
	s_or_b32 vcc_lo, s0, vcc_lo
	s_delay_alu instid0(VALU_DEP_3) | instskip(SKIP_3) | instid1(VALU_DEP_3)
	v_lshrrev_b32_e32 v17, v11, v18
	s_wait_alu 0xfffe
	v_add_co_ci_u32_e32 v9, vcc_lo, 0, v9, vcc_lo
	v_cmp_gt_i32_e32 vcc_lo, 1, v20
	v_lshlrev_b32_e32 v11, v11, v17
	s_wait_alu 0xfffd
	v_cndmask_b32_e32 v15, v22, v15, vcc_lo
	v_cmp_ne_u32_e32 vcc_lo, 0, v0
	s_wait_alu 0xfffd
	v_cndmask_b32_e64 v0, 0, 1, vcc_lo
	v_cmp_ne_u32_e32 vcc_lo, v11, v18
	v_add_nc_u32_e32 v18, 0xfffffc10, v21
	v_and_b32_e32 v21, 7, v15
	s_delay_alu instid0(VALU_DEP_4)
	v_lshl_or_b32 v0, v0, 9, 0x7c00
	s_wait_alu 0xfffd
	v_cndmask_b32_e64 v11, 0, 1, vcc_lo
	v_cmp_gt_i32_e32 vcc_lo, 31, v14
	v_cmp_gt_i32_e64 s1, 1, v18
	v_cmp_eq_u32_e64 s0, 3, v21
	s_delay_alu instid0(VALU_DEP_4)
	v_or_b32_e32 v11, v17, v11
	v_lshl_or_b32 v17, v18, 12, v2
	s_wait_alu 0xfffd
	v_cndmask_b32_e32 v9, 0x7c00, v9, vcc_lo
	v_cmp_lt_i32_e32 vcc_lo, 5, v21
	s_wait_alu 0xf1ff
	v_cndmask_b32_e64 v11, v17, v11, s1
	v_cmp_eq_u32_e64 s1, 0x40f, v14
	s_or_b32 vcc_lo, s0, vcc_lo
	s_delay_alu instid0(VALU_DEP_2) | instskip(NEXT) | instid1(VALU_DEP_2)
	v_and_b32_e32 v14, 7, v11
	v_cndmask_b32_e64 v0, v9, v0, s1
	v_lshrrev_b32_e32 v9, 2, v15
	v_lshrrev_b32_e32 v11, 2, v11
	v_cmp_gt_i32_e64 s1, 31, v20
	v_cmp_eq_u32_e64 s0, 3, v14
	s_wait_alu 0xfffe
	v_add_co_ci_u32_e32 v9, vcc_lo, 0, v9, vcc_lo
	v_cmp_ne_u32_e32 vcc_lo, 0, v12
	s_wait_alu 0xf1ff
	s_delay_alu instid0(VALU_DEP_2) | instskip(SKIP_3) | instid1(VALU_DEP_2)
	v_cndmask_b32_e64 v9, 0x7c00, v9, s1
	s_wait_alu 0xfffd
	v_cndmask_b32_e64 v12, 0, 1, vcc_lo
	v_cmp_lt_i32_e32 vcc_lo, 5, v14
	v_lshl_or_b32 v12, v12, 9, 0x7c00
	s_or_b32 vcc_lo, s0, vcc_lo
	s_wait_alu 0xfffe
	v_add_co_ci_u32_e32 v11, vcc_lo, 0, v11, vcc_lo
	v_cmp_ne_u32_e32 vcc_lo, 0, v2
	s_wait_alu 0xfffd
	v_cndmask_b32_e64 v2, 0, 1, vcc_lo
	v_cmp_eq_u32_e32 vcc_lo, 0x40f, v20
	s_delay_alu instid0(VALU_DEP_2)
	v_lshl_or_b32 v2, v2, 9, 0x7c00
	s_wait_alu 0xfffd
	v_cndmask_b32_e32 v9, v9, v12, vcc_lo
	v_cmp_gt_i32_e32 vcc_lo, 31, v18
	v_lshrrev_b32_e32 v12, 16, v13
	v_and_or_b32 v13, 0x8000, v1, v0
	s_wait_alu 0xfffd
	v_cndmask_b32_e32 v11, 0x7c00, v11, vcc_lo
	v_cmp_eq_u32_e32 vcc_lo, 0x40f, v18
	v_and_or_b32 v9, 0x8000, v12, v9
	s_wait_alu 0xfffd
	s_delay_alu instid0(VALU_DEP_1)
	v_dual_cndmask_b32 v2, v11, v2 :: v_dual_and_b32 v9, 0xffff, v9
	v_add_co_u32 v0, vcc_lo, v4, s2
	s_wait_alu 0xfffd
	v_add_co_ci_u32_e32 v1, vcc_lo, s3, v5, vcc_lo
	v_lshl_or_b32 v11, v13, 16, v8
	v_and_or_b32 v8, 0x8000, v3, v2
	v_add_co_u32 v2, vcc_lo, v0, s2
	s_wait_alu 0xfffd
	v_add_co_ci_u32_e32 v3, vcc_lo, s3, v1, vcc_lo
	s_delay_alu instid0(VALU_DEP_3) | instskip(NEXT) | instid1(VALU_DEP_3)
	v_lshl_or_b32 v12, v8, 16, v9
	v_add_co_u32 v8, vcc_lo, v2, s2
	s_wait_alu 0xfffd
	s_delay_alu instid0(VALU_DEP_3)
	v_add_co_ci_u32_e32 v9, vcc_lo, s3, v3, vcc_lo
	global_store_b32 v[6:7], v19, off
	global_store_b32 v[4:5], v16, off
	;; [unrolled: 1-line block ×5, first 2 shown]
.LBB0_26:
	s_nop 0
	s_sendmsg sendmsg(MSG_DEALLOC_VGPRS)
	s_endpgm
	.section	.rodata,"a",@progbits
	.p2align	6, 0x0
	.amdhsa_kernel bluestein_single_back_len270_dim1_half_op_CI_CI
		.amdhsa_group_segment_fixed_size 4320
		.amdhsa_private_segment_fixed_size 0
		.amdhsa_kernarg_size 104
		.amdhsa_user_sgpr_count 2
		.amdhsa_user_sgpr_dispatch_ptr 0
		.amdhsa_user_sgpr_queue_ptr 0
		.amdhsa_user_sgpr_kernarg_segment_ptr 1
		.amdhsa_user_sgpr_dispatch_id 0
		.amdhsa_user_sgpr_private_segment_size 0
		.amdhsa_wavefront_size32 1
		.amdhsa_uses_dynamic_stack 0
		.amdhsa_enable_private_segment 0
		.amdhsa_system_sgpr_workgroup_id_x 1
		.amdhsa_system_sgpr_workgroup_id_y 0
		.amdhsa_system_sgpr_workgroup_id_z 0
		.amdhsa_system_sgpr_workgroup_info 0
		.amdhsa_system_vgpr_workitem_id 0
		.amdhsa_next_free_vgpr 135
		.amdhsa_next_free_sgpr 20
		.amdhsa_reserve_vcc 1
		.amdhsa_float_round_mode_32 0
		.amdhsa_float_round_mode_16_64 0
		.amdhsa_float_denorm_mode_32 3
		.amdhsa_float_denorm_mode_16_64 3
		.amdhsa_fp16_overflow 0
		.amdhsa_workgroup_processor_mode 1
		.amdhsa_memory_ordered 1
		.amdhsa_forward_progress 0
		.amdhsa_round_robin_scheduling 0
		.amdhsa_exception_fp_ieee_invalid_op 0
		.amdhsa_exception_fp_denorm_src 0
		.amdhsa_exception_fp_ieee_div_zero 0
		.amdhsa_exception_fp_ieee_overflow 0
		.amdhsa_exception_fp_ieee_underflow 0
		.amdhsa_exception_fp_ieee_inexact 0
		.amdhsa_exception_int_div_zero 0
	.end_amdhsa_kernel
	.text
.Lfunc_end0:
	.size	bluestein_single_back_len270_dim1_half_op_CI_CI, .Lfunc_end0-bluestein_single_back_len270_dim1_half_op_CI_CI
                                        ; -- End function
	.section	.AMDGPU.csdata,"",@progbits
; Kernel info:
; codeLenInByte = 16796
; NumSgprs: 22
; NumVgprs: 135
; ScratchSize: 0
; MemoryBound: 0
; FloatMode: 240
; IeeeMode: 1
; LDSByteSize: 4320 bytes/workgroup (compile time only)
; SGPRBlocks: 2
; VGPRBlocks: 16
; NumSGPRsForWavesPerEU: 22
; NumVGPRsForWavesPerEU: 135
; Occupancy: 10
; WaveLimiterHint : 1
; COMPUTE_PGM_RSRC2:SCRATCH_EN: 0
; COMPUTE_PGM_RSRC2:USER_SGPR: 2
; COMPUTE_PGM_RSRC2:TRAP_HANDLER: 0
; COMPUTE_PGM_RSRC2:TGID_X_EN: 1
; COMPUTE_PGM_RSRC2:TGID_Y_EN: 0
; COMPUTE_PGM_RSRC2:TGID_Z_EN: 0
; COMPUTE_PGM_RSRC2:TIDIG_COMP_CNT: 0
	.text
	.p2alignl 7, 3214868480
	.fill 96, 4, 3214868480
	.type	__hip_cuid_46a8c726efb8706f,@object ; @__hip_cuid_46a8c726efb8706f
	.section	.bss,"aw",@nobits
	.globl	__hip_cuid_46a8c726efb8706f
__hip_cuid_46a8c726efb8706f:
	.byte	0                               ; 0x0
	.size	__hip_cuid_46a8c726efb8706f, 1

	.ident	"AMD clang version 19.0.0git (https://github.com/RadeonOpenCompute/llvm-project roc-6.4.0 25133 c7fe45cf4b819c5991fe208aaa96edf142730f1d)"
	.section	".note.GNU-stack","",@progbits
	.addrsig
	.addrsig_sym __hip_cuid_46a8c726efb8706f
	.amdgpu_metadata
---
amdhsa.kernels:
  - .args:
      - .actual_access:  read_only
        .address_space:  global
        .offset:         0
        .size:           8
        .value_kind:     global_buffer
      - .actual_access:  read_only
        .address_space:  global
        .offset:         8
        .size:           8
        .value_kind:     global_buffer
      - .actual_access:  read_only
        .address_space:  global
        .offset:         16
        .size:           8
        .value_kind:     global_buffer
      - .actual_access:  read_only
        .address_space:  global
        .offset:         24
        .size:           8
        .value_kind:     global_buffer
      - .actual_access:  read_only
        .address_space:  global
        .offset:         32
        .size:           8
        .value_kind:     global_buffer
      - .offset:         40
        .size:           8
        .value_kind:     by_value
      - .address_space:  global
        .offset:         48
        .size:           8
        .value_kind:     global_buffer
      - .address_space:  global
        .offset:         56
        .size:           8
        .value_kind:     global_buffer
      - .address_space:  global
        .offset:         64
        .size:           8
        .value_kind:     global_buffer
      - .address_space:  global
        .offset:         72
        .size:           8
        .value_kind:     global_buffer
      - .offset:         80
        .size:           4
        .value_kind:     by_value
      - .address_space:  global
        .offset:         88
        .size:           8
        .value_kind:     global_buffer
      - .address_space:  global
        .offset:         96
        .size:           8
        .value_kind:     global_buffer
    .group_segment_fixed_size: 4320
    .kernarg_segment_align: 8
    .kernarg_segment_size: 104
    .language:       OpenCL C
    .language_version:
      - 2
      - 0
    .max_flat_workgroup_size: 108
    .name:           bluestein_single_back_len270_dim1_half_op_CI_CI
    .private_segment_fixed_size: 0
    .sgpr_count:     22
    .sgpr_spill_count: 0
    .symbol:         bluestein_single_back_len270_dim1_half_op_CI_CI.kd
    .uniform_work_group_size: 1
    .uses_dynamic_stack: false
    .vgpr_count:     135
    .vgpr_spill_count: 0
    .wavefront_size: 32
    .workgroup_processor_mode: 1
amdhsa.target:   amdgcn-amd-amdhsa--gfx1201
amdhsa.version:
  - 1
  - 2
...

	.end_amdgpu_metadata
